;; amdgpu-corpus repo=ROCm/rocFFT kind=compiled arch=gfx950 opt=O3
	.text
	.amdgcn_target "amdgcn-amd-amdhsa--gfx950"
	.amdhsa_code_object_version 6
	.protected	bluestein_single_back_len1521_dim1_sp_op_CI_CI ; -- Begin function bluestein_single_back_len1521_dim1_sp_op_CI_CI
	.globl	bluestein_single_back_len1521_dim1_sp_op_CI_CI
	.p2align	8
	.type	bluestein_single_back_len1521_dim1_sp_op_CI_CI,@function
bluestein_single_back_len1521_dim1_sp_op_CI_CI: ; @bluestein_single_back_len1521_dim1_sp_op_CI_CI
; %bb.0:
	s_load_dwordx4 s[12:15], s[0:1], 0x28
	v_mul_u32_u24_e32 v1, 0x231, v0
	v_mov_b32_e32 v97, 0
	v_add_u32_sdwa v102, s2, v1 dst_sel:DWORD dst_unused:UNUSED_PAD src0_sel:DWORD src1_sel:WORD_1
	v_mov_b32_e32 v103, v97
	s_waitcnt lgkmcnt(0)
	v_cmp_gt_u64_e32 vcc, s[12:13], v[102:103]
	s_and_saveexec_b64 s[2:3], vcc
	s_cbranch_execz .LBB0_18
; %bb.1:
	s_load_dwordx4 s[4:7], s[0:1], 0x18
	s_load_dwordx4 s[8:11], s[0:1], 0x0
	v_mov_b32_e32 v2, s14
	v_mov_b32_e32 v3, s15
	s_movk_i32 s2, 0x75
	s_waitcnt lgkmcnt(0)
	s_load_dwordx4 s[12:15], s[4:5], 0x0
	v_mul_lo_u16_sdwa v1, v1, s2 dst_sel:DWORD dst_unused:UNUSED_PAD src0_sel:WORD_1 src1_sel:DWORD
	v_sub_u16_e32 v96, v0, v1
	v_mov_b32_e32 v28, 0x3a8
	v_lshlrev_b32_e32 v88, 3, v96
	s_waitcnt lgkmcnt(0)
	v_mad_u64_u32 v[0:1], s[2:3], s14, v102, 0
	v_mov_b32_e32 v4, v1
	v_mad_u64_u32 v[4:5], s[2:3], s15, v102, v[4:5]
	v_mov_b32_e32 v1, v4
	v_mad_u64_u32 v[4:5], s[2:3], s12, v96, 0
	v_mov_b32_e32 v6, v5
	v_mad_u64_u32 v[6:7], s[2:3], s13, v96, v[6:7]
	v_mov_b32_e32 v5, v6
	v_lshl_add_u64 v[0:1], v[0:1], 3, v[2:3]
	v_lshl_add_u64 v[0:1], v[4:5], 3, v[0:1]
	global_load_dwordx2 v[2:3], v[0:1], off
	v_mad_u64_u32 v[0:1], s[2:3], s12, v28, v[0:1]
	s_mul_i32 s4, s13, 0x3a8
	v_add_u32_e32 v1, s4, v1
	v_mad_u64_u32 v[6:7], s[2:3], s12, v28, v[0:1]
	v_add_u32_e32 v7, s4, v7
	v_mad_u64_u32 v[8:9], s[2:3], s12, v28, v[6:7]
	;; [unrolled: 2-line block ×3, first 2 shown]
	v_add_u32_e32 v11, s4, v11
	v_mov_b32_e32 v89, v97
	global_load_dwordx2 v[118:119], v88, s[8:9]
	global_load_dwordx2 v[116:117], v88, s[8:9] offset:936
	global_load_dwordx2 v[114:115], v88, s[8:9] offset:1872
	;; [unrolled: 1-line block ×3, first 2 shown]
	global_load_dwordx2 v[12:13], v[0:1], off
	global_load_dwordx2 v[14:15], v[6:7], off
	;; [unrolled: 1-line block ×4, first 2 shown]
	global_load_dwordx2 v[40:41], v88, s[8:9] offset:3744
	v_mad_u64_u32 v[0:1], s[2:3], s12, v28, v[10:11]
	v_lshl_add_u64 v[4:5], s[8:9], 0, v[88:89]
	v_add_u32_e32 v1, s4, v1
	s_movk_i32 s2, 0x1000
	global_load_dwordx2 v[6:7], v[0:1], off
	v_add_co_u32_e32 v8, vcc, s2, v4
	v_mad_u64_u32 v[0:1], s[2:3], s12, v28, v[0:1]
	v_add_u32_e32 v1, s4, v1
	v_addc_co_u32_e32 v9, vcc, 0, v5, vcc
	global_load_dwordx2 v[10:11], v[0:1], off
	global_load_dwordx2 v[110:111], v[8:9], off offset:584
	v_mad_u64_u32 v[0:1], s[2:3], s12, v28, v[0:1]
	v_add_u32_e32 v1, s4, v1
	global_load_dwordx2 v[20:21], v[0:1], off
	v_mad_u64_u32 v[0:1], s[2:3], s12, v28, v[0:1]
	v_add_u32_e32 v1, s4, v1
	global_load_dwordx2 v[112:113], v[8:9], off offset:1520
	global_load_dwordx2 v[22:23], v[0:1], off
	global_load_dwordx2 v[108:109], v[8:9], off offset:2456
	global_load_dwordx2 v[36:37], v[8:9], off offset:3392
	v_mad_u64_u32 v[0:1], s[2:3], s12, v28, v[0:1]
	v_add_u32_e32 v1, s4, v1
	s_movk_i32 s2, 0x2000
	global_load_dwordx2 v[8:9], v[0:1], off
	v_add_co_u32_e32 v4, vcc, s2, v4
	v_mad_u64_u32 v[0:1], s[2:3], s12, v28, v[0:1]
	s_nop 0
	v_addc_co_u32_e32 v5, vcc, 0, v5, vcc
	v_add_u32_e32 v1, s4, v1
	global_load_dwordx2 v[38:39], v[4:5], off offset:232
	global_load_dwordx2 v[24:25], v[0:1], off
	global_load_dwordx2 v[34:35], v[4:5], off offset:1168
	v_mad_u64_u32 v[0:1], s[2:3], s12, v28, v[0:1]
	v_add_u32_e32 v1, s4, v1
	global_load_dwordx2 v[26:27], v[0:1], off
	global_load_dwordx2 v[32:33], v[4:5], off offset:2104
	v_mad_u64_u32 v[0:1], s[2:3], s12, v28, v[0:1]
	v_add_u32_e32 v1, s4, v1
	global_load_dwordx2 v[28:29], v[0:1], off
	global_load_dwordx2 v[30:31], v[4:5], off offset:3040
	v_add_u32_e32 v89, 0x400, v88
	v_add_u32_e32 v134, 0xc00, v88
	;; [unrolled: 1-line block ×5, first 2 shown]
	s_load_dwordx4 s[4:7], s[6:7], 0x0
	s_mov_b32 s13, 0x3f62ad3f
	s_mov_b32 s12, 0xbeedf032
	;; [unrolled: 1-line block ×24, first 2 shown]
	s_waitcnt vmcnt(24)
	v_mul_f32_e32 v0, v3, v119
	v_mul_f32_e32 v1, v2, v119
	v_fmac_f32_e32 v0, v2, v118
	v_fma_f32 v1, v3, v118, -v1
	s_waitcnt vmcnt(20)
	v_mul_f32_e32 v2, v13, v117
	v_mul_f32_e32 v3, v12, v117
	v_fmac_f32_e32 v2, v12, v116
	v_fma_f32 v3, v13, v116, -v3
	ds_write2_b64 v88, v[0:1], v[2:3] offset1:117
	s_waitcnt vmcnt(19)
	v_mul_f32_e32 v0, v15, v115
	v_mul_f32_e32 v1, v14, v115
	s_waitcnt vmcnt(18)
	v_mul_f32_e32 v2, v17, v43
	v_mul_f32_e32 v3, v16, v43
	v_fmac_f32_e32 v0, v14, v114
	v_fma_f32 v1, v15, v114, -v1
	v_fmac_f32_e32 v2, v16, v42
	v_fma_f32 v3, v17, v42, -v3
	ds_write2_b64 v89, v[0:1], v[2:3] offset0:106 offset1:223
	s_waitcnt vmcnt(16)
	v_mul_f32_e32 v0, v19, v41
	v_mul_f32_e32 v1, v18, v41
	s_waitcnt vmcnt(13)
	v_mul_f32_e32 v2, v7, v111
	v_mul_f32_e32 v3, v6, v111
	v_fmac_f32_e32 v0, v18, v40
	v_fma_f32 v1, v19, v40, -v1
	v_fmac_f32_e32 v2, v6, v110
	v_fma_f32 v3, v7, v110, -v3
	ds_write2_b64 v134, v[0:1], v[2:3] offset0:84 offset1:201
	;; [unrolled: 11-line block ×3, first 2 shown]
	s_waitcnt vmcnt(8)
	v_mul_f32_e32 v0, v23, v37
	v_mul_f32_e32 v1, v22, v37
	v_fmac_f32_e32 v0, v22, v36
	v_fma_f32 v1, v23, v36, -v1
	s_waitcnt vmcnt(6)
	v_mul_f32_e32 v2, v9, v39
	v_mul_f32_e32 v3, v8, v39
	v_fmac_f32_e32 v2, v8, v38
	v_fma_f32 v3, v9, v38, -v3
	ds_write2_b64 v136, v[0:1], v[2:3] offset0:40 offset1:157
	s_waitcnt vmcnt(4)
	v_mul_f32_e32 v0, v25, v35
	v_mul_f32_e32 v1, v24, v35
	s_waitcnt vmcnt(2)
	v_mul_f32_e32 v2, v27, v33
	v_mul_f32_e32 v3, v26, v33
	v_fmac_f32_e32 v0, v24, v34
	v_fma_f32 v1, v25, v34, -v1
	v_fmac_f32_e32 v2, v26, v32
	v_fma_f32 v3, v27, v32, -v3
	ds_write2_b64 v137, v[0:1], v[2:3] offset0:18 offset1:135
	s_waitcnt vmcnt(0)
	v_mul_f32_e32 v0, v29, v31
	v_mul_f32_e32 v1, v28, v31
	v_fmac_f32_e32 v0, v28, v30
	v_accvgpr_write_b32 a0, v30
	v_fma_f32 v1, v29, v30, -v1
	v_accvgpr_write_b32 a1, v31
	ds_write_b64 v88, v[0:1] offset:11232
	s_waitcnt lgkmcnt(0)
	s_barrier
	ds_read2_b64 v[4:7], v134 offset0:84 offset1:201
	ds_read2_b64 v[14:17], v136 offset0:40 offset1:157
	;; [unrolled: 1-line block ×4, first 2 shown]
	ds_read2_b64 v[0:3], v88 offset1:117
	ds_read_b64 v[22:23], v88 offset:11232
	s_waitcnt lgkmcnt(4)
	v_pk_add_f32 v[12:13], v[16:17], v[4:5]
	v_pk_add_f32 v[10:11], v[4:5], v[16:17] neg_lo:[0,1] neg_hi:[0,1]
	v_pk_add_f32 v[24:25], v[14:15], v[6:7]
	s_waitcnt lgkmcnt(1)
	v_pk_add_f32 v[8:9], v[0:1], v[2:3]
	v_pk_add_f32 v[26:27], v[6:7], v[14:15] neg_lo:[0,1] neg_hi:[0,1]
	v_pk_add_f32 v[8:9], v[8:9], v[18:19]
	v_accvgpr_write_b32 a2, v32
	v_pk_add_f32 v[8:9], v[8:9], v[20:21]
	s_waitcnt lgkmcnt(0)
	v_pk_add_f32 v[64:65], v[22:23], v[2:3]
	v_pk_add_f32 v[4:5], v[8:9], v[4:5]
	v_pk_add_f32 v[2:3], v[2:3], v[22:23] neg_lo:[0,1] neg_hi:[0,1]
	v_pk_add_f32 v[8:9], v[4:5], v[6:7]
	ds_read2_b64 v[4:7], v137 offset0:18 offset1:135
	v_pk_add_f32 v[8:9], v[8:9], v[28:29]
	v_accvgpr_write_b32 a3, v33
	v_pk_add_f32 v[8:9], v[8:9], v[30:31]
	v_pk_add_f32 v[68:69], v[30:31], v[28:29]
	;; [unrolled: 1-line block ×3, first 2 shown]
	s_waitcnt lgkmcnt(0)
	v_pk_add_f32 v[54:55], v[6:7], v[18:19]
	v_pk_add_f32 v[8:9], v[8:9], v[16:17]
	v_pk_add_f32 v[14:15], v[18:19], v[6:7] neg_lo:[0,1] neg_hi:[0,1]
	v_pk_add_f32 v[46:47], v[4:5], v[20:21]
	v_pk_add_f32 v[18:19], v[20:21], v[4:5] neg_lo:[0,1] neg_hi:[0,1]
	;; [unrolled: 2-line block ×3, first 2 shown]
	v_pk_add_f32 v[32:33], v[4:5], v[6:7]
	v_mov_b32_e32 v5, v65
	v_mov_b32_e32 v65, v2
	v_pk_mul_f32 v[62:63], v[64:65], s[2:3]
	s_mov_b32 s2, 0xbf52af12
	s_mov_b32 s3, 0x3f116cb1
	v_mov_b32_e32 v4, v3
	v_mov_b32_e32 v3, v55
	;; [unrolled: 1-line block ×3, first 2 shown]
	s_mov_b32 s30, s3
	s_mov_b32 s31, s2
	v_mov_b32_e32 v2, v15
	v_pk_fma_f32 v[6:7], v[4:5], s[12:13], v[62:63] neg_lo:[1,0,0] neg_hi:[1,0,0]
	v_pk_fma_f32 v[8:9], v[4:5], s[12:13], v[62:63]
	v_pk_mul_f32 v[16:17], v[54:55], s[30:31]
	v_mov_b32_e32 v7, v9
	v_pk_fma_f32 v[20:21], v[2:3], s[2:3], v[16:17] neg_lo:[1,0,0] neg_hi:[1,0,0]
	v_pk_fma_f32 v[14:15], v[2:3], s[2:3], v[16:17]
	v_pk_add_f32 v[6:7], v[0:1], v[6:7]
	v_mov_b32_e32 v21, v15
	v_pk_add_f32 v[28:29], v[20:21], v[6:7]
	v_mov_b32_e32 v7, v47
	v_mov_b32_e32 v47, v18
	;; [unrolled: 1-line block ×3, first 2 shown]
	v_pk_mul_f32 v[18:19], v[46:47], s[38:39]
	v_accvgpr_write_b32 a4, v34
	v_pk_fma_f32 v[30:31], v[6:7], s[16:17], v[18:19] neg_lo:[1,0,0] neg_hi:[1,0,0]
	v_pk_fma_f32 v[20:21], v[6:7], s[16:17], v[18:19]
	v_pk_add_f32 v[32:33], v[32:33], v[22:23]
	v_mov_b32_e32 v31, v21
	v_pk_mul_f32 v[22:23], v[10:11], s[14:15] op_sel:[1,0] op_sel_hi:[0,0]
	v_accvgpr_write_b32 a5, v35
	v_pk_add_f32 v[30:31], v[30:31], v[28:29]
	v_pk_fma_f32 v[28:29], v[12:13], s[24:25], v[22:23] op_sel_hi:[1,0,1]
	v_pk_fma_f32 v[34:35], v[12:13], s[24:25], v[22:23] op_sel_hi:[1,0,1] neg_lo:[0,0,1] neg_hi:[0,0,1]
	v_accvgpr_write_b32 a6, v36
	v_mov_b32_e32 v23, v35
	v_mov_b32_e32 v35, v29
	v_pk_add_f32 v[30:31], v[34:35], v[30:31]
	v_pk_mul_f32 v[34:35], v[26:27], s[22:23] op_sel_hi:[1,0]
	v_accvgpr_write_b32 a7, v37
	v_pk_fma_f32 v[36:37], v[24:25], s[26:27], v[34:35] op_sel:[0,0,1] op_sel_hi:[1,0,0]
	v_pk_fma_f32 v[34:35], v[24:25], s[26:27], v[34:35] op_sel:[0,0,1] op_sel_hi:[1,0,0] neg_lo:[0,0,1] neg_hi:[0,0,1]
	v_accvgpr_write_b32 a12, v42
	v_mov_b32_e32 v29, v35
	v_mov_b32_e32 v35, v37
	v_pk_add_f32 v[30:31], v[34:35], v[30:31]
	v_pk_mul_f32 v[34:35], v[70:71], s[18:19] op_sel_hi:[1,0]
	v_accvgpr_write_b32 a13, v43
	v_accvgpr_write_b32 a8, v38
	v_pk_fma_f32 v[42:43], v[68:69], s[28:29], v[34:35] op_sel:[0,0,1] op_sel_hi:[1,0,0]
	v_pk_fma_f32 v[34:35], v[68:69], s[28:29], v[34:35] op_sel:[0,0,1] op_sel_hi:[1,0,0] neg_lo:[0,0,1] neg_hi:[0,0,1]
	v_accvgpr_write_b32 a9, v39
	v_mov_b32_e32 v39, v35
	v_mov_b32_e32 v35, v43
	v_mul_lo_u16_e32 v9, 13, v96
	v_accvgpr_write_b32 a10, v40
	v_pk_add_f32 v[30:31], v[34:35], v[30:31]
	v_lshlrev_b32_e32 v103, 3, v9
	v_pk_mul_f32 v[34:35], v[64:65], s[30:31]
	s_mov_b32 s25, s14
	v_accvgpr_write_b32 a11, v41
	s_barrier
	ds_write2_b64 v103, v[32:33], v[30:31] offset1:1
	v_pk_fma_f32 v[44:45], v[4:5], s[2:3], v[34:35] neg_lo:[1,0,0] neg_hi:[1,0,0]
	v_pk_fma_f32 v[30:31], v[4:5], s[2:3], v[34:35]
	s_mov_b32 s15, s24
	v_pk_mul_f32 v[40:41], v[54:55], s[24:25]
	v_mov_b32_e32 v45, v31
	v_pk_fma_f32 v[48:49], v[2:3], s[14:15], v[40:41] neg_lo:[1,0,0] neg_hi:[1,0,0]
	v_pk_fma_f32 v[32:33], v[2:3], s[14:15], v[40:41]
	v_pk_add_f32 v[44:45], v[0:1], v[44:45]
	v_mov_b32_e32 v49, v33
	s_mov_b32 s29, s18
	v_pk_add_f32 v[50:51], v[48:49], v[44:45]
	s_mov_b32 s19, s28
	v_pk_mul_f32 v[48:49], v[46:47], s[28:29]
	s_mov_b32 s27, s20
	v_pk_fma_f32 v[52:53], v[6:7], s[18:19], v[48:49] neg_lo:[1,0,0] neg_hi:[1,0,0]
	v_pk_fma_f32 v[44:45], v[6:7], s[18:19], v[48:49]
	v_pk_fma_f32 v[76:77], v[4:5], s[12:13], v[62:63] neg_lo:[0,0,1] neg_hi:[0,0,1]
	v_mov_b32_e32 v53, v45
	v_pk_add_f32 v[58:59], v[52:53], v[50:51]
	v_mov_b32_e32 v53, v13
	v_mov_b32_e32 v13, v10
	;; [unrolled: 1-line block ×3, first 2 shown]
	v_pk_mul_f32 v[56:57], v[12:13], s[26:27]
	s_mov_b32 s12, 0x3eedf032
	v_pk_fma_f32 v[60:61], v[10:11], s[20:21], v[56:57] op_sel:[1,0,0] op_sel_hi:[0,1,1] neg_lo:[1,0,0] neg_hi:[1,0,0]
	v_pk_fma_f32 v[50:51], v[52:53], s[20:21], v[56:57]
	v_pk_mul_f32 v[62:63], v[70:71], s[12:13] op_sel_hi:[1,0]
	v_mov_b32_e32 v61, v51
	v_pk_add_f32 v[66:67], v[60:61], v[58:59]
	v_pk_mul_f32 v[58:59], v[26:27], s[36:37] op_sel_hi:[1,0]
	v_pk_mul_f32 v[78:79], v[64:65], s[38:39]
	v_pk_fma_f32 v[60:61], v[24:25], s[40:41], v[58:59] op_sel:[0,0,1] op_sel_hi:[1,0,0] neg_lo:[0,0,1] neg_hi:[0,0,1]
	v_pk_fma_f32 v[58:59], v[24:25], s[40:41], v[58:59] op_sel:[0,0,1] op_sel_hi:[1,0,0]
	v_mov_b32_e32 v72, v60
	v_mov_b32_e32 v73, v59
	v_pk_add_f32 v[72:73], v[72:73], v[66:67]
	v_pk_fma_f32 v[66:67], v[68:69], s[42:43], v[62:63] op_sel:[0,0,1] op_sel_hi:[1,0,0] neg_lo:[0,0,1] neg_hi:[0,0,1]
	v_pk_fma_f32 v[62:63], v[68:69], s[42:43], v[62:63] op_sel:[0,0,1] op_sel_hi:[1,0,0]
	v_mov_b32_e32 v74, v66
	v_mov_b32_e32 v75, v63
	v_pk_add_f32 v[130:131], v[74:75], v[72:73]
	v_pk_fma_f32 v[82:83], v[4:5], s[16:17], v[78:79] neg_lo:[1,0,0] neg_hi:[1,0,0]
	v_pk_fma_f32 v[72:73], v[4:5], s[16:17], v[78:79]
	v_pk_mul_f32 v[80:81], v[54:55], s[28:29]
	v_mov_b32_e32 v83, v73
	v_pk_fma_f32 v[84:85], v[2:3], s[18:19], v[80:81] neg_lo:[1,0,0] neg_hi:[1,0,0]
	v_pk_fma_f32 v[74:75], v[2:3], s[18:19], v[80:81]
	v_pk_add_f32 v[82:83], v[0:1], v[82:83]
	v_mov_b32_e32 v85, v75
	v_pk_mul_f32 v[86:87], v[46:47], s[44:45]
	v_pk_add_f32 v[84:85], v[84:85], v[82:83]
	v_pk_fma_f32 v[120:121], v[6:7], s[34:35], v[86:87] neg_lo:[1,0,0] neg_hi:[1,0,0]
	v_pk_fma_f32 v[82:83], v[6:7], s[34:35], v[86:87]
	s_mov_b32 s44, s13
	s_mov_b32 s45, s12
	v_mov_b32_e32 v121, v83
	v_pk_mul_f32 v[122:123], v[12:13], s[44:45]
	v_pk_add_f32 v[120:121], v[120:121], v[84:85]
	v_pk_fma_f32 v[124:125], v[10:11], s[12:13], v[122:123] op_sel:[1,0,0] op_sel_hi:[0,1,1] neg_lo:[1,0,0] neg_hi:[1,0,0]
	v_pk_fma_f32 v[84:85], v[52:53], s[12:13], v[122:123]
	s_mov_b32 s48, s3
	v_mov_b32_e32 v125, v85
	v_pk_add_f32 v[126:127], v[124:125], v[120:121]
	v_pk_mul_f32 v[120:121], v[26:27], s[2:3] op_sel_hi:[1,0]
	v_pk_mul_f32 v[142:143], v[54:55], s[26:27]
	v_pk_fma_f32 v[124:125], v[24:25], s[48:49], v[120:121] op_sel:[0,0,1] op_sel_hi:[1,0,0] neg_lo:[0,0,1] neg_hi:[0,0,1]
	v_pk_fma_f32 v[120:121], v[24:25], s[48:49], v[120:121] op_sel:[0,0,1] op_sel_hi:[1,0,0]
	v_mov_b32_e32 v128, v124
	v_mov_b32_e32 v129, v121
	v_pk_add_f32 v[132:133], v[128:129], v[126:127]
	v_pk_mul_f32 v[126:127], v[70:71], s[22:23] op_sel_hi:[1,0]
	v_pk_fma_f32 v[144:145], v[2:3], s[20:21], v[142:143] neg_lo:[1,0,0] neg_hi:[1,0,0]
	v_pk_fma_f32 v[128:129], v[68:69], s[26:27], v[126:127] op_sel:[0,0,1] op_sel_hi:[1,0,0] neg_lo:[0,0,1] neg_hi:[0,0,1]
	v_pk_fma_f32 v[126:127], v[68:69], s[26:27], v[126:127] op_sel:[0,0,1] op_sel_hi:[1,0,0]
	v_mov_b32_e32 v138, v128
	v_mov_b32_e32 v139, v127
	v_pk_add_f32 v[132:133], v[138:139], v[132:133]
	v_pk_mul_f32 v[138:139], v[64:65], s[24:25]
	ds_write2_b64 v103, v[130:131], v[132:133] offset0:2 offset1:3
	v_pk_fma_f32 v[140:141], v[4:5], s[14:15], v[138:139] neg_lo:[1,0,0] neg_hi:[1,0,0]
	v_pk_fma_f32 v[130:131], v[4:5], s[14:15], v[138:139]
	v_pk_fma_f32 v[132:133], v[2:3], s[20:21], v[142:143]
	v_mov_b32_e32 v141, v131
	v_mov_b32_e32 v145, v133
	v_pk_add_f32 v[140:141], v[0:1], v[140:141]
	s_mov_b32 s27, s22
	v_pk_add_f32 v[140:141], v[144:145], v[140:141]
	v_pk_mul_f32 v[144:145], v[46:47], s[44:45]
	s_mov_b32 s23, s26
	v_pk_fma_f32 v[146:147], v[6:7], s[12:13], v[144:145] neg_lo:[1,0,0] neg_hi:[1,0,0]
	v_pk_fma_f32 v[148:149], v[6:7], s[12:13], v[144:145]
	s_mov_b32 s37, s17
	v_mov_b32_e32 v147, v149
	v_pk_add_f32 v[140:141], v[146:147], v[140:141]
	v_pk_mul_f32 v[146:147], v[12:13], s[38:39]
	s_mov_b32 s38, 0x3e750f2a
	v_pk_fma_f32 v[150:151], v[10:11], s[16:17], v[146:147] op_sel:[1,0,0] op_sel_hi:[0,1,1] neg_lo:[1,0,0] neg_hi:[1,0,0]
	v_pk_fma_f32 v[152:153], v[52:53], s[16:17], v[146:147]
	v_mov_b32_e32 v9, v77
	v_mov_b32_e32 v151, v153
	v_pk_add_f32 v[140:141], v[150:151], v[140:141]
	v_pk_mul_f32 v[150:151], v[26:27], s[38:39] op_sel_hi:[1,0]
	s_mov_b32 s39, s28
	v_pk_fma_f32 v[154:155], v[24:25], s[28:29], v[150:151] op_sel:[0,0,1] op_sel_hi:[1,0,0] neg_lo:[0,0,1] neg_hi:[0,0,1]
	v_pk_fma_f32 v[150:151], v[24:25], s[28:29], v[150:151] op_sel:[0,0,1] op_sel_hi:[1,0,0]
	v_mov_b32_e32 v156, v154
	v_mov_b32_e32 v157, v151
	v_pk_add_f32 v[140:141], v[156:157], v[140:141]
	v_pk_mul_f32 v[156:157], v[70:71], s[46:47] op_sel_hi:[1,0]
	s_mov_b32 s47, s3
	v_pk_fma_f32 v[158:159], v[68:69], s[48:49], v[156:157] op_sel:[0,0,1] op_sel_hi:[1,0,0] neg_lo:[0,0,1] neg_hi:[0,0,1]
	v_pk_fma_f32 v[156:157], v[68:69], s[48:49], v[156:157] op_sel:[0,0,1] op_sel_hi:[1,0,0]
	v_mov_b32_e32 v160, v158
	v_mov_b32_e32 v161, v157
	v_pk_add_f32 v[140:141], v[160:161], v[140:141]
	v_pk_mul_f32 v[160:161], v[64:65], s[26:27]
	s_mov_b32 s48, s17
	s_mov_b32 s49, s36
	v_pk_fma_f32 v[162:163], v[4:5], s[22:23], v[160:161] neg_lo:[1,0,0] neg_hi:[1,0,0]
	v_pk_fma_f32 v[164:165], v[4:5], s[22:23], v[160:161]
	v_pk_mul_f32 v[166:167], v[54:55], s[48:49]
	v_mov_b32_e32 v163, v165
	v_pk_fma_f32 v[168:169], v[2:3], s[36:37], v[166:167] neg_lo:[1,0,0] neg_hi:[1,0,0]
	v_pk_fma_f32 v[170:171], v[2:3], s[36:37], v[166:167]
	v_pk_add_f32 v[162:163], v[0:1], v[162:163]
	v_mov_b32_e32 v169, v171
	v_pk_add_f32 v[162:163], v[168:169], v[162:163]
	v_pk_mul_f32 v[168:169], v[46:47], s[30:31]
	s_mov_b32 s30, s28
	v_pk_fma_f32 v[172:173], v[6:7], s[2:3], v[168:169] neg_lo:[1,0,0] neg_hi:[1,0,0]
	v_pk_fma_f32 v[174:175], v[6:7], s[2:3], v[168:169]
	s_mov_b32 s31, s38
	v_mov_b32_e32 v173, v175
	v_pk_add_f32 v[162:163], v[172:173], v[162:163]
	v_pk_mul_f32 v[172:173], v[12:13], s[30:31]
	v_pk_mul_f32 v[54:55], v[54:55], s[44:45]
	v_pk_fma_f32 v[176:177], v[10:11], s[38:39], v[172:173] op_sel:[1,0,0] op_sel_hi:[0,1,1] neg_lo:[1,0,0] neg_hi:[1,0,0]
	v_pk_fma_f32 v[178:179], v[52:53], s[38:39], v[172:173]
	v_pk_fma_f32 v[188:189], v[2:3], s[12:13], v[54:55]
	v_mov_b32_e32 v177, v179
	v_pk_add_f32 v[162:163], v[176:177], v[162:163]
	v_pk_mul_f32 v[176:177], v[26:27], s[12:13] op_sel_hi:[1,0]
	v_pk_mul_f32 v[26:27], v[26:27], s[14:15] op_sel_hi:[1,0]
	v_pk_fma_f32 v[180:181], v[24:25], s[42:43], v[176:177] op_sel:[0,0,1] op_sel_hi:[1,0,0] neg_lo:[0,0,1] neg_hi:[0,0,1]
	v_pk_fma_f32 v[176:177], v[24:25], s[42:43], v[176:177] op_sel:[0,0,1] op_sel_hi:[1,0,0]
	v_mov_b32_e32 v182, v180
	v_mov_b32_e32 v183, v177
	v_pk_add_f32 v[162:163], v[182:183], v[162:163]
	v_pk_mul_f32 v[182:183], v[70:71], s[14:15] op_sel_hi:[1,0]
	v_pk_mul_f32 v[70:71], v[70:71], s[36:37] op_sel_hi:[1,0]
	v_pk_fma_f32 v[184:185], v[68:69], s[24:25], v[182:183] op_sel:[0,0,1] op_sel_hi:[1,0,0] neg_lo:[0,0,1] neg_hi:[0,0,1]
	v_pk_fma_f32 v[182:183], v[68:69], s[24:25], v[182:183] op_sel:[0,0,1] op_sel_hi:[1,0,0]
	v_mov_b32_e32 v186, v184
	v_mov_b32_e32 v187, v183
	v_pk_add_f32 v[162:163], v[186:187], v[162:163]
	ds_write2_b64 v103, v[140:141], v[162:163] offset0:4 offset1:5
	v_pk_fma_f32 v[140:141], v[68:69], s[40:41], v[70:71] op_sel:[0,0,1] op_sel_hi:[1,0,0] neg_lo:[0,0,1] neg_hi:[0,0,1]
	v_pk_fma_f32 v[68:69], v[68:69], s[40:41], v[70:71] op_sel:[0,0,1] op_sel_hi:[1,0,0]
	v_pk_fma_f32 v[70:71], v[24:25], s[24:25], v[26:27] op_sel:[0,0,1] op_sel_hi:[1,0,0] neg_lo:[0,0,1] neg_hi:[0,0,1]
	v_pk_fma_f32 v[24:25], v[24:25], s[24:25], v[26:27] op_sel:[0,0,1] op_sel_hi:[1,0,0]
	v_pk_mul_f32 v[26:27], v[64:65], s[28:29]
	v_pk_fma_f32 v[186:187], v[2:3], s[12:13], v[54:55] neg_lo:[1,0,0] neg_hi:[1,0,0]
	v_pk_fma_f32 v[64:65], v[4:5], s[18:19], v[26:27] neg_lo:[1,0,0] neg_hi:[1,0,0]
	v_pk_fma_f32 v[162:163], v[4:5], s[18:19], v[26:27]
	v_mov_b32_e32 v187, v189
	v_mov_b32_e32 v65, v163
	v_pk_add_f32 v[64:65], v[0:1], v[64:65]
	v_pk_mul_f32 v[46:47], v[46:47], s[26:27]
	v_pk_add_f32 v[64:65], v[186:187], v[64:65]
	v_pk_fma_f32 v[186:187], v[6:7], s[22:23], v[46:47] neg_lo:[1,0,0] neg_hi:[1,0,0]
	v_pk_fma_f32 v[190:191], v[6:7], s[22:23], v[46:47]
	s_mov_b32 s24, s3
	s_mov_b32 s25, s46
	v_mov_b32_e32 v187, v191
	v_pk_mul_f32 v[12:13], v[12:13], s[24:25]
	v_pk_fma_f32 v[26:27], v[4:5], s[18:19], v[26:27] neg_lo:[0,0,1] neg_hi:[0,0,1]
	v_pk_add_f32 v[64:65], v[186:187], v[64:65]
	v_pk_fma_f32 v[10:11], v[10:11], s[46:47], v[12:13] op_sel:[1,0,0] op_sel_hi:[0,1,1] neg_lo:[1,0,0] neg_hi:[1,0,0]
	v_pk_fma_f32 v[186:187], v[52:53], s[46:47], v[12:13]
	v_mov_b32_e32 v163, v27
	v_pk_fma_f32 v[26:27], v[2:3], s[12:13], v[54:55] neg_lo:[0,0,1] neg_hi:[0,0,1]
	v_pk_fma_f32 v[12:13], v[52:53], s[46:47], v[12:13] neg_lo:[0,0,1] neg_hi:[0,0,1]
	v_mov_b32_e32 v11, v187
	v_mov_b32_e32 v189, v27
	v_pk_fma_f32 v[26:27], v[6:7], s[22:23], v[46:47] neg_lo:[0,0,1] neg_hi:[0,0,1]
	v_mov_b32_e32 v187, v13
	v_pk_add_f32 v[12:13], v[0:1], v[162:163]
	v_mov_b32_e32 v191, v27
	v_pk_add_f32 v[12:13], v[188:189], v[12:13]
	v_pk_add_f32 v[10:11], v[10:11], v[64:65]
	;; [unrolled: 1-line block ×3, first 2 shown]
	v_mov_b32_e32 v64, v70
	v_mov_b32_e32 v65, v25
	;; [unrolled: 1-line block ×3, first 2 shown]
	v_pk_add_f32 v[12:13], v[186:187], v[12:13]
	v_pk_add_f32 v[10:11], v[64:65], v[10:11]
	v_mov_b32_e32 v64, v140
	v_mov_b32_e32 v65, v69
	;; [unrolled: 1-line block ×3, first 2 shown]
	v_pk_add_f32 v[12:13], v[24:25], v[12:13]
	v_pk_add_f32 v[10:11], v[64:65], v[10:11]
	;; [unrolled: 1-line block ×3, first 2 shown]
	ds_write2_b64 v103, v[10:11], v[12:13] offset0:6 offset1:7
	v_pk_fma_f32 v[10:11], v[4:5], s[22:23], v[160:161] neg_lo:[0,0,1] neg_hi:[0,0,1]
	v_pk_fma_f32 v[12:13], v[4:5], s[14:15], v[138:139] neg_lo:[0,0,1] neg_hi:[0,0,1]
	v_mov_b32_e32 v165, v11
	v_pk_fma_f32 v[10:11], v[2:3], s[36:37], v[166:167] neg_lo:[0,0,1] neg_hi:[0,0,1]
	v_mov_b32_e32 v131, v13
	;; [unrolled: 2-line block ×7, first 2 shown]
	v_pk_add_f32 v[10:11], v[0:1], v[164:165]
	v_mov_b32_e32 v153, v13
	v_pk_add_f32 v[12:13], v[0:1], v[130:131]
	v_pk_add_f32 v[10:11], v[170:171], v[10:11]
	;; [unrolled: 1-line block ×5, first 2 shown]
	v_mov_b32_e32 v177, v181
	v_pk_add_f32 v[10:11], v[178:179], v[10:11]
	v_mov_b32_e32 v151, v155
	v_pk_add_f32 v[12:13], v[152:153], v[12:13]
	;; [unrolled: 2-line block ×4, first 2 shown]
	v_pk_add_f32 v[10:11], v[182:183], v[10:11]
	v_pk_add_f32 v[12:13], v[156:157], v[12:13]
	ds_write2_b64 v103, v[10:11], v[12:13] offset0:8 offset1:9
	v_pk_fma_f32 v[10:11], v[2:3], s[2:3], v[16:17] neg_lo:[0,0,1] neg_hi:[0,0,1]
	v_pk_add_f32 v[8:9], v[0:1], v[8:9]
	v_mov_b32_e32 v15, v11
	v_pk_fma_f32 v[10:11], v[6:7], s[16:17], v[18:19] neg_lo:[0,0,1] neg_hi:[0,0,1]
	v_pk_add_f32 v[8:9], v[14:15], v[8:9]
	v_mov_b32_e32 v21, v11
	v_mov_b32_e32 v22, v28
	v_pk_add_f32 v[8:9], v[20:21], v[8:9]
	v_mov_b32_e32 v28, v36
	v_pk_add_f32 v[8:9], v[22:23], v[8:9]
	;; [unrolled: 2-line block ×4, first 2 shown]
	v_pk_fma_f32 v[8:9], v[4:5], s[16:17], v[78:79] neg_lo:[0,0,1] neg_hi:[0,0,1]
	v_pk_fma_f32 v[4:5], v[4:5], s[2:3], v[34:35] neg_lo:[0,0,1] neg_hi:[0,0,1]
	v_mov_b32_e32 v73, v9
	v_pk_fma_f32 v[8:9], v[2:3], s[18:19], v[80:81] neg_lo:[0,0,1] neg_hi:[0,0,1]
	v_mov_b32_e32 v31, v5
	v_mov_b32_e32 v75, v9
	v_pk_fma_f32 v[8:9], v[6:7], s[34:35], v[86:87] neg_lo:[0,0,1] neg_hi:[0,0,1]
	v_pk_fma_f32 v[2:3], v[2:3], s[14:15], v[40:41] neg_lo:[0,0,1] neg_hi:[0,0,1]
	v_mov_b32_e32 v83, v9
	v_pk_fma_f32 v[8:9], v[52:53], s[12:13], v[122:123] neg_lo:[0,0,1] neg_hi:[0,0,1]
	v_mov_b32_e32 v33, v3
	v_mov_b32_e32 v85, v9
	v_pk_add_f32 v[8:9], v[0:1], v[72:73]
	v_pk_fma_f32 v[2:3], v[6:7], s[18:19], v[48:49] neg_lo:[0,0,1] neg_hi:[0,0,1]
	v_pk_add_f32 v[0:1], v[0:1], v[30:31]
	v_pk_add_f32 v[8:9], v[74:75], v[8:9]
	v_mov_b32_e32 v45, v3
	v_pk_fma_f32 v[2:3], v[52:53], s[20:21], v[56:57] neg_lo:[0,0,1] neg_hi:[0,0,1]
	v_pk_add_f32 v[0:1], v[32:33], v[0:1]
	v_pk_add_f32 v[8:9], v[82:83], v[8:9]
	v_mov_b32_e32 v51, v3
	v_pk_add_f32 v[0:1], v[44:45], v[0:1]
	v_pk_add_f32 v[8:9], v[84:85], v[8:9]
	v_mov_b32_e32 v59, v61
	v_pk_add_f32 v[0:1], v[50:51], v[0:1]
	v_mov_b32_e32 v127, v129
	;; [unrolled: 2-line block ×3, first 2 shown]
	v_pk_add_f32 v[0:1], v[58:59], v[0:1]
	v_pk_add_f32 v[8:9], v[126:127], v[8:9]
	;; [unrolled: 1-line block ×3, first 2 shown]
	ds_write2_b64 v103, v[8:9], v[0:1] offset0:10 offset1:11
	ds_write_b64 v103, v[54:55] offset:96
	s_waitcnt lgkmcnt(0)
	s_barrier
	ds_read2_b64 v[32:35], v88 offset1:117
	ds_read2_b64 v[40:43], v134 offset0:123 offset1:240
	ds_read2_b64 v[36:39], v136 offset0:118 offset1:235
	;; [unrolled: 1-line block ×5, first 2 shown]
	s_load_dwordx2 s[12:13], s[0:1], 0x38
	v_cmp_lt_u16_e64 s[0:1], 38, v96
	v_cmp_gt_u16_e32 vcc, 39, v96
                                        ; implicit-def: $vgpr48
                                        ; implicit-def: $vgpr52
                                        ; implicit-def: $vgpr50
                                        ; implicit-def: $vgpr56
	s_and_saveexec_b64 s[2:3], vcc
	s_cbranch_execz .LBB0_3
; %bb.2:
	ds_read_b64 v[48:49], v88 offset:7800
	ds_read_b64 v[50:51], v88 offset:11856
	;; [unrolled: 1-line block ×3, first 2 shown]
	s_waitcnt lgkmcnt(0)
	v_mov_b32_e32 v52, v49
	v_mov_b32_e32 v56, v51
.LBB0_3:
	s_or_b64 exec, exec, s[2:3]
	s_movk_i32 s2, 0x4f
	v_mul_lo_u16_sdwa v4, v96, s2 dst_sel:DWORD dst_unused:UNUSED_PAD src0_sel:BYTE_0 src1_sel:DWORD
	v_lshrrev_b16_e32 v20, 10, v4
	v_mul_lo_u16_e32 v4, 13, v20
	v_sub_u16_e32 v4, v96, v4
	v_add_u16_e32 v72, 0x75, v96
	v_and_b32_e32 v21, 0xff, v4
	v_mul_lo_u16_sdwa v4, v72, s2 dst_sel:DWORD dst_unused:UNUSED_PAD src0_sel:BYTE_0 src1_sel:DWORD
	v_lshrrev_b16_e32 v22, 10, v4
	v_mul_lo_u16_e32 v4, 13, v22
	v_add_u16_e32 v73, 0x1d4, v96
	v_sub_u16_e32 v9, v72, v4
	v_mul_u32_u24_e32 v4, 0x4ec5, v73
	v_lshrrev_b32_e32 v4, 18, v4
	v_accvgpr_write_b32 a14, v4
	v_mul_lo_u16_e32 v4, 13, v4
	v_sub_u16_e32 v4, v73, v4
	v_accvgpr_write_b32 a15, v4
	v_lshlrev_b16_e32 v4, 1, v4
	v_lshlrev_b32_e32 v8, 4, v21
	v_lshlrev_b32_e32 v4, 3, v4
	v_and_b32_e32 v23, 0xff, v9
	global_load_dwordx4 v[4:7], v4, s[10:11]
	v_lshlrev_b32_e32 v12, 4, v23
	global_load_dwordx4 v[8:11], v8, s[10:11]
	s_mov_b64 s[2:3], 0xea
	global_load_dwordx4 v[12:15], v12, s[10:11]
	s_movk_i32 s16, 0x4ec5
	v_lshl_add_u64 v[44:45], v[96:97], 0, s[2:3]
	v_mul_u32_u24_sdwa v16, v44, s16 dst_sel:DWORD dst_unused:UNUSED_PAD src0_sel:WORD_0 src1_sel:DWORD
	v_lshrrev_b32_e32 v45, 18, v16
	v_mul_lo_u16_e32 v16, 13, v45
	v_sub_u16_e32 v69, v44, v16
	v_lshlrev_b16_e32 v16, 1, v69
	v_lshlrev_b32_e32 v16, 3, v16
	global_load_dwordx4 v[16:19], v16, s[10:11]
	s_mov_b64 s[14:15], 0x15f
	v_lshl_add_u64 v[46:47], v[96:97], 0, s[14:15]
	v_mul_u32_u24_sdwa v47, v46, s16 dst_sel:DWORD dst_unused:UNUSED_PAD src0_sel:WORD_0 src1_sel:DWORD
	v_lshrrev_b32_e32 v47, 18, v47
	v_mul_lo_u16_e32 v49, 13, v47
	v_sub_u16_e32 v74, v46, v49
	v_mul_u32_u24_e32 v20, 39, v20
	v_lshlrev_b16_e32 v49, 1, v74
	v_mul_u32_u24_e32 v22, 39, v22
	v_add_lshl_u32 v76, v20, v21, 3
	v_lshlrev_b32_e32 v20, 3, v49
	v_add_lshl_u32 v75, v22, v23, 3
	global_load_dwordx4 v[20:23], v20, s[10:11]
	s_mov_b32 s2, 0x3f5db3d7
	s_waitcnt lgkmcnt(0)
	s_barrier
	v_accvgpr_write_b32 a17, v76
	v_accvgpr_write_b32 a16, v75
	s_waitcnt vmcnt(4)
	v_pk_mul_f32 v[52:53], v[52:53], v[4:5] op_sel_hi:[0,1]
	v_pk_mul_f32 v[56:57], v[56:57], v[6:7] op_sel_hi:[0,1]
	s_waitcnt vmcnt(3)
	v_pk_mul_f32 v[58:59], v[40:41], v[8:9] op_sel:[0,1]
	v_mov_b32_e32 v60, v11
	s_waitcnt vmcnt(2)
	v_pk_mul_f32 v[62:63], v[42:43], v[12:13] op_sel:[0,1]
	v_pk_fma_f32 v[64:65], v[48:49], v[4:5], v[52:53] op_sel:[0,0,1] op_sel_hi:[1,1,0] neg_lo:[0,0,1] neg_hi:[0,0,1]
	v_pk_fma_f32 v[48:49], v[48:49], v[4:5], v[52:53] op_sel:[0,0,1] op_sel_hi:[0,1,0]
	v_pk_fma_f32 v[52:53], v[50:51], v[6:7], v[56:57] op_sel:[0,0,1] op_sel_hi:[1,1,0] neg_lo:[0,0,1] neg_hi:[0,0,1]
	v_pk_fma_f32 v[50:51], v[50:51], v[6:7], v[56:57] op_sel:[0,0,1] op_sel_hi:[0,1,0]
	;; [unrolled: 2-line block ×3, first 2 shown]
	v_pk_mul_f32 v[58:59], v[36:37], v[60:61] op_sel_hi:[1,0]
	v_pk_fma_f32 v[60:61], v[42:43], v[12:13], v[62:63] op_sel:[0,0,1] op_sel_hi:[1,1,0] neg_lo:[0,0,1] neg_hi:[0,0,1]
	v_pk_fma_f32 v[42:43], v[42:43], v[12:13], v[62:63] op_sel:[0,0,1] op_sel_hi:[1,0,0]
	v_mov_b32_e32 v65, v49
	v_mov_b32_e32 v53, v51
	;; [unrolled: 1-line block ×3, first 2 shown]
	v_pk_fma_f32 v[40:41], v[36:37], v[10:11], v[58:59] op_sel:[0,0,1] op_sel_hi:[1,1,0] neg_lo:[0,0,1] neg_hi:[0,0,1]
	v_pk_fma_f32 v[36:37], v[36:37], v[10:11], v[58:59] op_sel:[0,0,1] op_sel_hi:[1,0,0]
	v_mov_b32_e32 v61, v43
	v_pk_add_f32 v[42:43], v[54:55], v[64:65]
	v_pk_add_f32 v[48:49], v[64:65], v[52:53]
	v_pk_add_f32 v[50:51], v[64:65], v[52:53] neg_lo:[0,1] neg_hi:[0,1]
	v_mov_b32_e32 v41, v37
	v_pk_add_f32 v[36:37], v[32:33], v[56:57]
	v_pk_add_f32 v[64:65], v[42:43], v[52:53]
	v_pk_fma_f32 v[42:43], v[48:49], 0.5, v[54:55] op_sel_hi:[1,0,1] neg_lo:[1,0,0] neg_hi:[1,0,0]
	v_pk_mul_f32 v[48:49], v[50:51], s[2:3] op_sel_hi:[1,0]
	v_pk_add_f32 v[36:37], v[36:37], v[40:41]
	v_pk_add_f32 v[50:51], v[56:57], v[40:41]
	v_pk_add_f32 v[40:41], v[56:57], v[40:41] neg_lo:[0,1] neg_hi:[0,1]
	v_pk_fma_f32 v[32:33], v[50:51], 0.5, v[32:33] op_sel_hi:[1,0,1] neg_lo:[1,0,0] neg_hi:[1,0,0]
	v_pk_mul_f32 v[40:41], v[40:41], s[2:3] op_sel_hi:[1,0]
	v_pk_add_f32 v[66:67], v[42:43], v[48:49] op_sel:[0,1] op_sel_hi:[1,0] neg_lo:[0,1] neg_hi:[0,1]
	v_pk_add_f32 v[70:71], v[48:49], v[42:43] op_sel:[1,0] op_sel_hi:[0,1]
	v_pk_add_f32 v[42:43], v[32:33], v[40:41] op_sel:[0,1] op_sel_hi:[1,0]
	v_pk_add_f32 v[32:33], v[32:33], v[40:41] op_sel:[0,1] op_sel_hi:[1,0] neg_lo:[0,1] neg_hi:[0,1]
	v_mov_b32_e32 v68, v15
	v_mov_b32_e32 v41, v33
	;; [unrolled: 1-line block ×4, first 2 shown]
	ds_write_b64 v76, v[32:33] offset:208
	v_pk_mul_f32 v[32:33], v[38:39], v[68:69] op_sel_hi:[1,0]
	ds_write2_b64 v76, v[36:37], v[40:41] offset1:13
	v_pk_fma_f32 v[36:37], v[38:39], v[14:15], v[32:33] op_sel:[0,0,1] op_sel_hi:[1,1,0] neg_lo:[0,0,1] neg_hi:[0,0,1]
	v_pk_fma_f32 v[32:33], v[38:39], v[14:15], v[32:33] op_sel:[0,0,1] op_sel_hi:[1,0,0]
	s_nop 0
	v_mov_b32_e32 v37, v33
	v_pk_add_f32 v[32:33], v[34:35], v[60:61]
	v_pk_add_f32 v[38:39], v[60:61], v[36:37]
	;; [unrolled: 1-line block ×3, first 2 shown]
	v_pk_add_f32 v[36:37], v[60:61], v[36:37] neg_lo:[0,1] neg_hi:[0,1]
	v_pk_fma_f32 v[34:35], v[38:39], 0.5, v[34:35] op_sel_hi:[1,0,1] neg_lo:[1,0,0] neg_hi:[1,0,0]
	v_pk_mul_f32 v[36:37], v[36:37], s[2:3] op_sel_hi:[1,0]
	s_nop 0
	v_pk_add_f32 v[38:39], v[34:35], v[36:37] op_sel:[0,1] op_sel_hi:[1,0]
	v_pk_add_f32 v[34:35], v[34:35], v[36:37] op_sel:[0,1] op_sel_hi:[1,0] neg_lo:[0,1] neg_hi:[0,1]
	v_mov_b32_e32 v36, v38
	v_mov_b32_e32 v37, v35
	ds_write2_b64 v75, v[32:33], v[36:37] offset1:13
	v_mad_legacy_u16 v32, v45, 39, v69
	v_mov_b32_e32 v35, v39
	v_lshlrev_b32_e32 v38, 3, v32
	s_waitcnt vmcnt(1)
	v_pk_mul_f32 v[32:33], v[28:29], v[16:17] op_sel:[0,1]
	ds_write_b64 v75, v[34:35] offset:208
	v_pk_fma_f32 v[34:35], v[28:29], v[16:17], v[32:33] op_sel:[0,0,1] op_sel_hi:[1,1,0] neg_lo:[0,0,1] neg_hi:[0,0,1]
	v_pk_fma_f32 v[28:29], v[28:29], v[16:17], v[32:33] op_sel:[0,0,1] op_sel_hi:[1,0,0]
	v_accvgpr_write_b32 a18, v38
	v_mov_b32_e32 v28, v19
	v_mov_b32_e32 v35, v29
	v_pk_mul_f32 v[28:29], v[24:25], v[28:29] op_sel_hi:[1,0]
	s_nop 0
	v_pk_fma_f32 v[32:33], v[24:25], v[18:19], v[28:29] op_sel:[0,0,1] op_sel_hi:[1,1,0] neg_lo:[0,0,1] neg_hi:[0,0,1]
	v_pk_fma_f32 v[24:25], v[24:25], v[18:19], v[28:29] op_sel:[0,0,1] op_sel_hi:[1,0,0]
	s_nop 0
	v_mov_b32_e32 v33, v25
	v_pk_add_f32 v[24:25], v[34:35], v[32:33]
	v_pk_add_f32 v[28:29], v[34:35], v[32:33] neg_lo:[0,1] neg_hi:[0,1]
	v_pk_fma_f32 v[24:25], v[24:25], 0.5, v[0:1] op_sel_hi:[1,0,1] neg_lo:[1,0,0] neg_hi:[1,0,0]
	v_pk_mul_f32 v[28:29], v[28:29], s[2:3] op_sel_hi:[1,0]
	v_pk_add_f32 v[0:1], v[0:1], v[34:35]
	v_pk_add_f32 v[36:37], v[24:25], v[28:29] op_sel:[0,1] op_sel_hi:[1,0] neg_lo:[0,1] neg_hi:[0,1]
	v_pk_add_f32 v[24:25], v[24:25], v[28:29] op_sel:[0,1] op_sel_hi:[1,0]
	v_pk_add_f32 v[0:1], v[0:1], v[32:33]
	v_mov_b32_e32 v28, v24
	v_mov_b32_e32 v29, v37
	ds_write2_b64 v38, v[0:1], v[28:29] offset1:13
	v_mad_legacy_u16 v0, v47, 39, v74
	v_lshlrev_b32_e32 v32, 3, v0
	s_waitcnt vmcnt(0)
	v_pk_mul_f32 v[0:1], v[30:31], v[20:21] op_sel:[0,1]
	v_mov_b32_e32 v37, v25
	v_pk_fma_f32 v[24:25], v[30:31], v[20:21], v[0:1] op_sel:[0,0,1] op_sel_hi:[1,1,0] neg_lo:[0,0,1] neg_hi:[0,0,1]
	v_pk_fma_f32 v[0:1], v[30:31], v[20:21], v[0:1] op_sel:[0,0,1] op_sel_hi:[1,0,0]
	v_accvgpr_write_b32 a19, v32
	v_mov_b32_e32 v0, v23
	v_mov_b32_e32 v25, v1
	v_pk_mul_f32 v[0:1], v[26:27], v[0:1] op_sel_hi:[1,0]
	ds_write_b64 v38, v[36:37] offset:208
	v_pk_fma_f32 v[28:29], v[26:27], v[22:23], v[0:1] op_sel:[0,0,1] op_sel_hi:[1,1,0] neg_lo:[0,0,1] neg_hi:[0,0,1]
	v_pk_fma_f32 v[0:1], v[26:27], v[22:23], v[0:1] op_sel:[0,0,1] op_sel_hi:[1,0,0]
	s_nop 0
	v_mov_b32_e32 v29, v1
	v_pk_add_f32 v[0:1], v[24:25], v[28:29]
	v_pk_add_f32 v[26:27], v[24:25], v[28:29] neg_lo:[0,1] neg_hi:[0,1]
	v_pk_fma_f32 v[0:1], v[0:1], 0.5, v[2:3] op_sel_hi:[1,0,1] neg_lo:[1,0,0] neg_hi:[1,0,0]
	v_pk_mul_f32 v[26:27], v[26:27], s[2:3] op_sel_hi:[1,0]
	v_pk_add_f32 v[2:3], v[2:3], v[24:25]
	v_pk_add_f32 v[30:31], v[0:1], v[26:27] op_sel:[0,1] op_sel_hi:[1,0] neg_lo:[0,1] neg_hi:[0,1]
	v_pk_add_f32 v[0:1], v[0:1], v[26:27] op_sel:[0,1] op_sel_hi:[1,0]
	v_pk_add_f32 v[2:3], v[2:3], v[28:29]
	v_mov_b32_e32 v24, v0
	v_mov_b32_e32 v25, v31
	;; [unrolled: 1-line block ×3, first 2 shown]
	ds_write2_b64 v32, v[2:3], v[24:25] offset1:13
	ds_write_b64 v32, v[30:31] offset:208
	s_and_saveexec_b64 s[2:3], vcc
	s_cbranch_execz .LBB0_5
; %bb.4:
	v_accvgpr_read_b32 v0, a14
	v_accvgpr_read_b32 v1, a15
	v_mad_legacy_u16 v0, v0, 39, v1
	v_lshlrev_b32_e32 v2, 3, v0
	v_mov_b32_e32 v0, v70
	v_mov_b32_e32 v1, v67
	ds_write2_b64 v2, v[64:65], v[0:1] offset1:13
	v_mov_b32_e32 v0, v66
	v_mov_b32_e32 v1, v71
	ds_write_b64 v2, v[0:1] offset:208
.LBB0_5:
	s_or_b64 exec, exec, s[2:3]
	v_add_u32_e32 v0, 0xc00, v88
	s_waitcnt lgkmcnt(0)
	s_barrier
	ds_read2_b64 v[60:63], v0 offset0:123 offset1:240
	v_add_u32_e32 v0, 0x1c00, v88
	ds_read2_b64 v[56:59], v0 offset0:118 offset1:235
	v_add_u32_e32 v0, 0x400, v88
	;; [unrolled: 2-line block ×4, first 2 shown]
	ds_read2_b64 v[52:55], v88 offset1:117
	ds_read2_b64 v[40:43], v0 offset0:96 offset1:213
	s_and_saveexec_b64 s[2:3], s[0:1]
	s_xor_b64 s[2:3], exec, s[2:3]
	s_andn2_saveexec_b64 s[2:3], s[2:3]
	s_cbranch_execz .LBB0_7
; %bb.6:
	ds_read_b64 v[0:1], v88 offset:7800
	ds_read_b64 v[66:67], v88 offset:11856
	;; [unrolled: 1-line block ×3, first 2 shown]
	s_waitcnt lgkmcnt(2)
	v_mov_b32_e32 v70, v0
	s_waitcnt lgkmcnt(1)
	v_mov_b32_e32 v71, v67
	v_mov_b32_e32 v67, v1
.LBB0_7:
	s_or_b64 exec, exec, s[2:3]
	s_movk_i32 s2, 0xa5
	v_mul_lo_u16_sdwa v0, v96, s2 dst_sel:DWORD dst_unused:UNUSED_PAD src0_sel:BYTE_0 src1_sel:DWORD
	v_sub_u16_sdwa v1, v96, v0 dst_sel:DWORD dst_unused:UNUSED_PAD src0_sel:DWORD src1_sel:BYTE_1
	v_lshrrev_b16_e32 v1, 1, v1
	v_and_b32_e32 v1, 0x7f, v1
	v_add_u16_sdwa v0, v1, v0 dst_sel:DWORD dst_unused:UNUSED_PAD src0_sel:DWORD src1_sel:BYTE_1
	v_lshrrev_b16_e32 v0, 5, v0
	v_and_b32_e32 v74, 7, v0
	v_mul_lo_u16_e32 v0, 39, v74
	v_sub_u16_e32 v0, v96, v0
	s_mov_b32 s3, 0xa41b
	v_and_b32_e32 v75, 0xff, v0
	v_mul_u32_u24_sdwa v0, v44, s3 dst_sel:DWORD dst_unused:UNUSED_PAD src0_sel:WORD_0 src1_sel:DWORD
	v_sub_u16_sdwa v1, v44, v0 dst_sel:DWORD dst_unused:UNUSED_PAD src0_sel:DWORD src1_sel:WORD_1
	v_lshrrev_b16_e32 v1, 1, v1
	v_add_u16_sdwa v0, v1, v0 dst_sel:DWORD dst_unused:UNUSED_PAD src0_sel:DWORD src1_sel:WORD_1
	v_lshrrev_b16_e32 v82, 5, v0
	v_mul_lo_u16_e32 v0, 39, v82
	v_sub_u16_e32 v83, v44, v0
	v_mul_u32_u24_sdwa v0, v46, s3 dst_sel:DWORD dst_unused:UNUSED_PAD src0_sel:WORD_0 src1_sel:DWORD
	v_sub_u16_sdwa v1, v46, v0 dst_sel:DWORD dst_unused:UNUSED_PAD src0_sel:DWORD src1_sel:WORD_1
	v_lshrrev_b16_e32 v1, 1, v1
	v_add_u16_sdwa v0, v1, v0 dst_sel:DWORD dst_unused:UNUSED_PAD src0_sel:DWORD src1_sel:WORD_1
	v_lshrrev_b16_e32 v84, 5, v0
	v_mul_lo_u16_e32 v0, 39, v84
	v_sub_u16_e32 v85, v46, v0
	v_mul_u32_u24_e32 v0, 0xa41b, v73
	v_sub_u16_sdwa v1, v73, v0 dst_sel:DWORD dst_unused:UNUSED_PAD src0_sel:DWORD src1_sel:WORD_1
	v_lshrrev_b16_e32 v1, 1, v1
	v_add_u16_sdwa v0, v1, v0 dst_sel:DWORD dst_unused:UNUSED_PAD src0_sel:DWORD src1_sel:WORD_1
	v_lshrrev_b16_e32 v0, 5, v0
	v_lshlrev_b16_e32 v68, 4, v83
	v_mov_b32_e32 v69, 0
	v_mul_lo_u16_e32 v0, 39, v0
	v_lshl_add_u64 v[44:45], s[10:11], 0, v[68:69]
	v_lshlrev_b16_e32 v68, 4, v85
	v_sub_u16_e32 v86, v73, v0
	v_lshl_add_u64 v[46:47], s[10:11], 0, v[68:69]
	v_lshlrev_b16_e32 v68, 4, v86
	v_lshl_add_u64 v[0:1], s[10:11], 0, v[68:69]
	v_lshlrev_b32_e32 v24, 4, v75
	v_mul_lo_u16_sdwa v28, v72, s2 dst_sel:DWORD dst_unused:UNUSED_PAD src0_sel:BYTE_0 src1_sel:DWORD
	global_load_dwordx4 v[0:3], v[0:1], off offset:208
	v_sub_u16_sdwa v29, v72, v28 dst_sel:DWORD dst_unused:UNUSED_PAD src0_sel:DWORD src1_sel:BYTE_1
	global_load_dwordx4 v[24:27], v24, s[10:11] offset:208
	v_lshrrev_b16_e32 v29, 1, v29
	v_and_b32_e32 v29, 0x7f, v29
	v_add_u16_sdwa v28, v29, v28 dst_sel:DWORD dst_unused:UNUSED_PAD src0_sel:DWORD src1_sel:BYTE_1
	v_lshrrev_b16_e32 v28, 5, v28
	v_and_b32_e32 v87, 7, v28
	v_mul_lo_u16_e32 v28, 39, v87
	v_sub_u16_e32 v28, v72, v28
	v_and_b32_e32 v89, 0xff, v28
	v_lshlrev_b32_e32 v68, 4, v89
	global_load_dwordx4 v[32:35], v68, s[10:11] offset:208
	global_load_dwordx4 v[28:31], v[44:45], off offset:208
	s_movk_i32 s3, 0x75
	global_load_dwordx4 v[44:47], v[46:47], off offset:208
	v_mul_u32_u24_sdwa v68, v74, s3 dst_sel:DWORD dst_unused:UNUSED_PAD src0_sel:WORD_0 src1_sel:DWORD
	v_add_lshl_u32 v90, v68, v75, 3
	s_mov_b32 s2, 0x3f5db3d7
	s_waitcnt lgkmcnt(0)
	s_barrier
	v_accvgpr_write_b32 a20, v90
	s_waitcnt vmcnt(4)
	v_pk_mul_f32 v[72:73], v[70:71], v[0:1] op_sel_hi:[0,1]
	v_pk_mul_f32 v[74:75], v[66:67], v[2:3] op_sel_hi:[0,1]
	s_waitcnt vmcnt(3)
	v_pk_mul_f32 v[76:77], v[60:61], v[24:25] op_sel:[0,1]
	v_mov_b32_e32 v68, v27
	v_pk_fma_f32 v[78:79], v[66:67], v[0:1], v[72:73] op_sel:[1,0,1] op_sel_hi:[1,1,0]
	v_pk_fma_f32 v[66:67], v[66:67], v[0:1], v[72:73] op_sel:[1,0,1] op_sel_hi:[1,1,0] neg_lo:[1,0,0] neg_hi:[1,0,0]
	v_pk_fma_f32 v[72:73], v[70:71], v[2:3], v[74:75] op_sel:[1,0,1] op_sel_hi:[1,1,0]
	v_pk_fma_f32 v[70:71], v[70:71], v[2:3], v[74:75] op_sel:[1,0,1] op_sel_hi:[1,1,0] neg_lo:[1,0,0] neg_hi:[1,0,0]
	v_pk_fma_f32 v[74:75], v[60:61], v[24:25], v[76:77] op_sel:[0,0,1] op_sel_hi:[1,1,0] neg_lo:[0,0,1] neg_hi:[0,0,1]
	v_pk_fma_f32 v[76:77], v[60:61], v[24:25], v[76:77] op_sel:[0,0,1] op_sel_hi:[1,0,0]
	v_pk_mul_f32 v[80:81], v[56:57], v[68:69] op_sel_hi:[1,0]
	v_mov_b32_e32 v73, v71
	v_mov_b32_e32 v66, v71
	v_mov_b32_e32 v75, v77
	v_pk_fma_f32 v[70:71], v[56:57], v[26:27], v[80:81] op_sel:[0,0,1] op_sel_hi:[1,1,0] neg_lo:[0,0,1] neg_hi:[0,0,1]
	v_pk_fma_f32 v[56:57], v[56:57], v[26:27], v[80:81] op_sel:[0,0,1] op_sel_hi:[1,0,0]
	v_mov_b32_e32 v79, v67
	v_mov_b32_e32 v60, v67
	v_mov_b32_e32 v61, v78
	v_mov_b32_e32 v67, v72
	v_mov_b32_e32 v71, v57
	v_pk_add_f32 v[56:57], v[52:53], v[74:75]
	v_pk_add_f32 v[76:77], v[60:61], v[66:67]
	v_pk_add_f32 v[72:73], v[78:79], v[72:73] neg_lo:[0,1] neg_hi:[0,1]
	v_pk_add_f32 v[56:57], v[56:57], v[70:71]
	v_pk_add_f32 v[78:79], v[74:75], v[70:71]
	v_pk_add_f32 v[70:71], v[74:75], v[70:71] neg_lo:[0,1] neg_hi:[0,1]
	v_pk_fma_f32 v[76:77], v[76:77], 0.5, v[64:65] op_sel_hi:[1,0,1] neg_lo:[1,0,0] neg_hi:[1,0,0]
	v_pk_fma_f32 v[52:53], v[78:79], 0.5, v[52:53] op_sel_hi:[1,0,1] neg_lo:[1,0,0] neg_hi:[1,0,0]
	v_pk_mul_f32 v[70:71], v[70:71], s[2:3] op_sel_hi:[1,0]
	v_pk_fma_f32 v[120:121], v[72:73], s[2:3], v[76:77] op_sel_hi:[1,0,1] neg_lo:[1,0,0] neg_hi:[1,0,0]
	v_pk_fma_f32 v[122:123], v[72:73], s[2:3], v[76:77] op_sel_hi:[1,0,1]
	v_pk_add_f32 v[72:73], v[52:53], v[70:71] op_sel:[0,1] op_sel_hi:[1,0]
	v_pk_add_f32 v[52:53], v[52:53], v[70:71] op_sel:[0,1] op_sel_hi:[1,0] neg_lo:[0,1] neg_hi:[0,1]
	v_mov_b32_e32 v70, v72
	v_mov_b32_e32 v71, v53
	;; [unrolled: 1-line block ×3, first 2 shown]
	ds_write_b64 v90, v[52:53] offset:624
	v_mul_u32_u24_sdwa v52, v87, s3 dst_sel:DWORD dst_unused:UNUSED_PAD src0_sel:WORD_0 src1_sel:DWORD
	v_add_lshl_u32 v221, v52, v89, 3
	s_waitcnt vmcnt(2)
	v_pk_mul_f32 v[52:53], v[62:63], v[32:33] op_sel:[0,1]
	ds_write2_b64 v90, v[56:57], v[70:71] offset1:39
	v_pk_fma_f32 v[56:57], v[62:63], v[32:33], v[52:53] op_sel:[0,0,1] op_sel_hi:[1,1,0] neg_lo:[0,0,1] neg_hi:[0,0,1]
	v_pk_fma_f32 v[52:53], v[62:63], v[32:33], v[52:53] op_sel:[0,0,1] op_sel_hi:[1,0,0]
	s_nop 0
	v_mov_b32_e32 v52, v35
	v_mov_b32_e32 v57, v53
	v_pk_mul_f32 v[52:53], v[58:59], v[52:53] op_sel_hi:[1,0]
	s_nop 0
	v_pk_fma_f32 v[62:63], v[58:59], v[34:35], v[52:53] op_sel:[0,0,1] op_sel_hi:[1,1,0] neg_lo:[0,0,1] neg_hi:[0,0,1]
	v_pk_fma_f32 v[52:53], v[58:59], v[34:35], v[52:53] op_sel:[0,0,1] op_sel_hi:[1,0,0]
	s_nop 0
	v_mov_b32_e32 v63, v53
	v_pk_add_f32 v[52:53], v[54:55], v[56:57]
	v_pk_add_f32 v[58:59], v[56:57], v[62:63]
	v_pk_add_f32 v[56:57], v[56:57], v[62:63] neg_lo:[0,1] neg_hi:[0,1]
	v_pk_fma_f32 v[54:55], v[58:59], 0.5, v[54:55] op_sel_hi:[1,0,1] neg_lo:[1,0,0] neg_hi:[1,0,0]
	v_pk_mul_f32 v[56:57], v[56:57], s[2:3] op_sel_hi:[1,0]
	v_pk_add_f32 v[52:53], v[52:53], v[62:63]
	v_pk_add_f32 v[58:59], v[54:55], v[56:57] op_sel:[0,1] op_sel_hi:[1,0]
	v_pk_add_f32 v[54:55], v[54:55], v[56:57] op_sel:[0,1] op_sel_hi:[1,0] neg_lo:[0,1] neg_hi:[0,1]
	v_mov_b32_e32 v56, v58
	v_mov_b32_e32 v57, v55
	ds_write2_b64 v221, v[52:53], v[56:57] offset1:39
	v_mad_legacy_u16 v52, v82, s3, v83
	v_mov_b32_e32 v55, v59
	v_lshlrev_b32_e32 v58, 3, v52
	s_waitcnt vmcnt(1)
	v_pk_mul_f32 v[52:53], v[48:49], v[28:29] op_sel:[0,1]
	ds_write_b64 v221, v[54:55] offset:624
	v_pk_fma_f32 v[54:55], v[48:49], v[28:29], v[52:53] op_sel:[0,0,1] op_sel_hi:[1,1,0] neg_lo:[0,0,1] neg_hi:[0,0,1]
	v_pk_fma_f32 v[48:49], v[48:49], v[28:29], v[52:53] op_sel:[0,0,1] op_sel_hi:[1,0,0]
	v_accvgpr_write_b32 a21, v58
	v_mov_b32_e32 v48, v31
	v_mov_b32_e32 v55, v49
	v_pk_mul_f32 v[48:49], v[40:41], v[48:49] op_sel_hi:[1,0]
	s_nop 0
	v_pk_fma_f32 v[52:53], v[40:41], v[30:31], v[48:49] op_sel:[0,0,1] op_sel_hi:[1,1,0] neg_lo:[0,0,1] neg_hi:[0,0,1]
	v_pk_fma_f32 v[40:41], v[40:41], v[30:31], v[48:49] op_sel:[0,0,1] op_sel_hi:[1,0,0]
	s_nop 0
	v_mov_b32_e32 v53, v41
	v_pk_add_f32 v[40:41], v[54:55], v[52:53]
	v_pk_add_f32 v[48:49], v[54:55], v[52:53] neg_lo:[0,1] neg_hi:[0,1]
	v_pk_fma_f32 v[40:41], v[40:41], 0.5, v[36:37] op_sel_hi:[1,0,1] neg_lo:[1,0,0] neg_hi:[1,0,0]
	v_pk_mul_f32 v[48:49], v[48:49], s[2:3] op_sel_hi:[1,0]
	v_pk_add_f32 v[36:37], v[36:37], v[54:55]
	v_pk_add_f32 v[56:57], v[40:41], v[48:49] op_sel:[0,1] op_sel_hi:[1,0] neg_lo:[0,1] neg_hi:[0,1]
	v_pk_add_f32 v[40:41], v[40:41], v[48:49] op_sel:[0,1] op_sel_hi:[1,0]
	v_pk_add_f32 v[36:37], v[36:37], v[52:53]
	v_mov_b32_e32 v48, v40
	v_mov_b32_e32 v49, v57
	ds_write2_b64 v58, v[36:37], v[48:49] offset1:39
	v_mad_legacy_u16 v36, v84, s3, v85
	v_lshlrev_b32_e32 v97, 3, v36
	s_waitcnt vmcnt(0)
	v_pk_mul_f32 v[36:37], v[50:51], v[44:45] op_sel:[0,1]
	v_mov_b32_e32 v57, v41
	v_pk_fma_f32 v[40:41], v[50:51], v[44:45], v[36:37] op_sel:[0,0,1] op_sel_hi:[1,1,0] neg_lo:[0,0,1] neg_hi:[0,0,1]
	v_pk_fma_f32 v[36:37], v[50:51], v[44:45], v[36:37] op_sel:[0,0,1] op_sel_hi:[1,0,0]
	ds_write_b64 v58, v[56:57] offset:624
	v_mov_b32_e32 v36, v47
	v_mov_b32_e32 v41, v37
	v_pk_mul_f32 v[36:37], v[42:43], v[36:37] op_sel_hi:[1,0]
	s_nop 0
	v_pk_fma_f32 v[48:49], v[42:43], v[46:47], v[36:37] op_sel:[0,0,1] op_sel_hi:[1,1,0] neg_lo:[0,0,1] neg_hi:[0,0,1]
	v_pk_fma_f32 v[36:37], v[42:43], v[46:47], v[36:37] op_sel:[0,0,1] op_sel_hi:[1,0,0]
	s_nop 0
	v_mov_b32_e32 v49, v37
	v_pk_add_f32 v[36:37], v[40:41], v[48:49]
	v_pk_add_f32 v[42:43], v[40:41], v[48:49] neg_lo:[0,1] neg_hi:[0,1]
	v_pk_fma_f32 v[36:37], v[36:37], 0.5, v[38:39] op_sel_hi:[1,0,1] neg_lo:[1,0,0] neg_hi:[1,0,0]
	v_pk_mul_f32 v[42:43], v[42:43], s[2:3] op_sel_hi:[1,0]
	v_pk_add_f32 v[38:39], v[38:39], v[40:41]
	v_pk_add_f32 v[50:51], v[36:37], v[42:43] op_sel:[0,1] op_sel_hi:[1,0] neg_lo:[0,1] neg_hi:[0,1]
	v_pk_add_f32 v[36:37], v[36:37], v[42:43] op_sel:[0,1] op_sel_hi:[1,0]
	v_pk_add_f32 v[38:39], v[38:39], v[48:49]
	v_mov_b32_e32 v40, v36
	v_lshlrev_b32_e32 v36, 3, v86
	v_mov_b32_e32 v41, v51
	v_mov_b32_e32 v51, v37
	v_accvgpr_write_b32 a22, v36
	ds_write2_b64 v97, v[38:39], v[40:41] offset1:39
	ds_write_b64 v97, v[50:51] offset:624
	s_and_saveexec_b64 s[2:3], vcc
	s_cbranch_execz .LBB0_9
; %bb.8:
	v_pk_add_f32 v[36:37], v[64:65], v[60:61]
	v_accvgpr_read_b32 v41, a22
	v_pk_add_f32 v[36:37], v[36:37], v[66:67]
	v_mov_b32_e32 v38, v122
	v_mov_b32_e32 v39, v121
	v_add_u32_e32 v40, 0x2800, v41
	ds_write2_b64 v40, v[36:37], v[38:39] offset0:124 offset1:163
	v_mov_b32_e32 v36, v120
	v_mov_b32_e32 v37, v123
	ds_write_b64 v41, v[36:37] offset:11856
.LBB0_9:
	s_or_b64 exec, exec, s[2:3]
	s_movk_i32 s2, 0x60
	v_mov_b64_e32 v[36:37], s[10:11]
	v_mad_u64_u32 v[64:65], s[2:3], v96, s2, v[36:37]
	s_waitcnt lgkmcnt(0)
	s_barrier
	global_load_dwordx4 v[40:43], v[64:65], off offset:832
	global_load_dwordx4 v[36:39], v[64:65], off offset:848
	;; [unrolled: 1-line block ×6, first 2 shown]
	ds_read2_b64 v[64:67], v88 offset1:117
	v_add_u32_e32 v217, 0xc00, v88
	v_add_u32_e32 v216, 0x400, v88
	;; [unrolled: 1-line block ×5, first 2 shown]
	ds_read_b64 v[86:87], v88 offset:11232
	ds_read2_b64 v[70:73], v217 offset0:84 offset1:201
	ds_read2_b64 v[74:77], v216 offset0:106 offset1:223
	;; [unrolled: 1-line block ×5, first 2 shown]
	s_waitcnt lgkmcnt(6)
	v_mov_b32_e32 v68, v67
	s_waitcnt lgkmcnt(3)
	v_mov_b32_e32 v128, v75
	v_mov_b32_e32 v130, v77
	s_mov_b32 s34, 0xbeedf032
	s_mov_b32 s35, 0x3f62ad3f
	;; [unrolled: 1-line block ×39, first 2 shown]
	s_waitcnt vmcnt(5)
	v_pk_mul_f32 v[132:133], v[66:67], v[40:41]
	v_pk_mul_f32 v[134:135], v[74:75], v[42:43]
	s_waitcnt vmcnt(4)
	v_pk_mul_f32 v[136:137], v[76:77], v[36:37]
	v_mov_b32_e32 v132, v41
	v_mov_b32_e32 v134, v43
	;; [unrolled: 1-line block ×4, first 2 shown]
	s_waitcnt vmcnt(3)
	v_pk_mul_f32 v[140:141], v[72:73], v[52:53] op_sel:[0,1]
	v_mov_b32_e32 v142, v55
	s_waitcnt vmcnt(2)
	v_mov_b32_e32 v146, v51
	s_waitcnt vmcnt(1)
	;; [unrolled: 2-line block ×3, first 2 shown]
	v_mov_b32_e32 v154, v59
	v_mov_b32_e32 v156, v133
	v_pk_mul_f32 v[132:133], v[66:67], v[132:133]
	v_mov_b32_e32 v158, v135
	v_pk_mul_f32 v[134:135], v[74:75], v[134:135]
	;; [unrolled: 2-line block ×3, first 2 shown]
	v_pk_mul_f32 v[138:139], v[70:71], v[138:139] op_sel_hi:[1,0]
	v_pk_fma_f32 v[162:163], v[72:73], v[52:53], v[140:141] op_sel:[0,0,1] op_sel_hi:[1,1,0] neg_lo:[0,0,1] neg_hi:[0,0,1]
	v_pk_fma_f32 v[72:73], v[72:73], v[52:53], v[140:141] op_sel:[0,0,1] op_sel_hi:[1,0,0]
	s_waitcnt lgkmcnt(2)
	v_pk_mul_f32 v[140:141], v[78:79], v[142:143] op_sel_hi:[1,0]
	s_waitcnt lgkmcnt(1)
	v_pk_mul_f32 v[142:143], v[82:83], v[146:147] op_sel_hi:[1,0]
	;; [unrolled: 2-line block ×3, first 2 shown]
	v_pk_mul_f32 v[150:151], v[86:87], v[154:155] op_sel_hi:[1,0]
	v_pk_fma_f32 v[156:157], v[66:67], v[40:41], v[156:157] neg_lo:[0,0,1] neg_hi:[0,0,1]
	v_pk_fma_f32 v[132:133], v[68:69], v[40:41], v[132:133]
	v_pk_fma_f32 v[128:129], v[128:129], v[42:43], v[134:135]
	;; [unrolled: 1-line block ×3, first 2 shown]
	v_pk_fma_f32 v[134:135], v[70:71], v[38:39], v[138:139] op_sel:[0,0,1] op_sel_hi:[1,1,0] neg_lo:[0,0,1] neg_hi:[0,0,1]
	v_pk_fma_f32 v[66:67], v[70:71], v[38:39], v[138:139] op_sel:[0,0,1] op_sel_hi:[1,0,0]
	v_mov_b32_e32 v163, v73
	v_pk_fma_f32 v[136:137], v[78:79], v[54:55], v[140:141] op_sel:[0,0,1] op_sel_hi:[1,1,0] neg_lo:[0,0,1] neg_hi:[0,0,1]
	v_pk_fma_f32 v[70:71], v[78:79], v[54:55], v[140:141] op_sel:[0,0,1] op_sel_hi:[1,0,0]
	v_pk_fma_f32 v[78:79], v[82:83], v[50:51], v[142:143] op_sel:[0,0,1] op_sel_hi:[1,1,0] neg_lo:[0,0,1] neg_hi:[0,0,1]
	v_pk_fma_f32 v[72:73], v[82:83], v[50:51], v[142:143] op_sel:[0,0,1] op_sel_hi:[1,0,0]
	v_pk_mul_f32 v[144:145], v[80:81], v[48:49] op_sel:[0,1]
	v_mov_b32_e32 v79, v73
	v_pk_fma_f32 v[72:73], v[86:87], v[58:59], v[150:151] op_sel:[0,0,1] op_sel_hi:[1,0,0]
	v_mov_b32_e32 v89, v132
	v_pk_mul_f32 v[148:149], v[84:85], v[60:61] op_sel:[0,1]
	v_pk_mul_f32 v[152:153], v[126:127], v[56:57] op_sel:[0,1]
	v_pk_fma_f32 v[164:165], v[80:81], v[48:49], v[144:145] op_sel:[0,0,1] op_sel_hi:[1,1,0] neg_lo:[0,0,1] neg_hi:[0,0,1]
	v_pk_fma_f32 v[80:81], v[80:81], v[48:49], v[144:145] op_sel:[0,0,1] op_sel_hi:[1,0,0]
	v_mov_b32_e32 v135, v67
	v_mov_b32_e32 v137, v71
	v_pk_fma_f32 v[70:71], v[86:87], v[58:59], v[150:151] op_sel:[0,0,1] op_sel_hi:[1,0,0] neg_lo:[0,0,1] neg_hi:[0,0,1]
	v_pk_add_f32 v[66:67], v[88:89], v[72:73]
	v_pk_fma_f32 v[144:145], v[84:85], v[60:61], v[148:149] op_sel:[0,0,1] op_sel_hi:[1,1,0] neg_lo:[0,0,1] neg_hi:[0,0,1]
	v_pk_fma_f32 v[84:85], v[84:85], v[60:61], v[148:149] op_sel:[0,0,1] op_sel_hi:[1,0,0]
	v_pk_fma_f32 v[148:149], v[126:127], v[56:57], v[152:153] op_sel:[0,0,1] op_sel_hi:[1,0,0] neg_lo:[0,0,1] neg_hi:[0,0,1]
	v_pk_fma_f32 v[126:127], v[126:127], v[56:57], v[152:153] op_sel:[0,0,1] op_sel_hi:[1,0,0]
	v_pk_fma_f32 v[74:75], v[74:75], v[42:43], v[158:159] neg_lo:[0,0,1] neg_hi:[0,0,1]
	v_pk_fma_f32 v[76:77], v[76:77], v[36:37], v[160:161] neg_lo:[0,0,1] neg_hi:[0,0,1]
	v_mov_b32_e32 v165, v81
	v_pk_fma_f32 v[80:81], v[124:125], v[62:63], v[146:147] op_sel:[0,0,1] op_sel_hi:[1,0,0] neg_lo:[0,0,1] neg_hi:[0,0,1]
	v_pk_add_f32 v[168:169], v[156:157], v[70:71]
	v_pk_add_f32 v[150:151], v[156:157], v[70:71] neg_lo:[0,1] neg_hi:[0,1]
	v_mov_b32_e32 v66, v73
	v_mov_b32_e32 v71, v128
	;; [unrolled: 1-line block ×8, first 2 shown]
	v_pk_add_f32 v[172:173], v[132:133], v[66:67] neg_lo:[0,1] neg_hi:[0,1]
	v_pk_add_f32 v[170:171], v[74:75], v[148:149]
	v_pk_add_f32 v[70:71], v[70:71], v[126:127]
	v_pk_add_f32 v[132:133], v[74:75], v[148:149] neg_lo:[0,1] neg_hi:[0,1]
	v_mov_b32_e32 v66, v127
	v_pk_add_f32 v[148:149], v[76:77], v[80:81]
	v_pk_add_f32 v[126:127], v[76:77], v[80:81] neg_lo:[0,1] neg_hi:[0,1]
	v_pk_add_f32 v[74:75], v[64:65], v[156:157]
	v_pk_add_f32 v[76:77], v[64:65], v[88:89]
	v_mov_b32_e32 v139, v128
	v_mov_b32_e32 v75, v77
	;; [unrolled: 1-line block ×3, first 2 shown]
	v_pk_add_f32 v[74:75], v[74:75], v[138:139]
	v_pk_fma_f32 v[82:83], v[124:125], v[62:63], v[146:147] op_sel:[0,0,1] op_sel_hi:[1,0,0]
	v_pk_add_f32 v[74:75], v[74:75], v[140:141]
	v_mov_b32_e32 v124, v80
	v_pk_add_f32 v[74:75], v[74:75], v[134:135]
	v_mov_b32_e32 v125, v83
	v_pk_add_f32 v[74:75], v[74:75], v[162:163]
	v_pk_add_f32 v[174:175], v[128:129], v[66:67] neg_lo:[0,1] neg_hi:[0,1]
	v_pk_add_f32 v[74:75], v[74:75], v[136:137]
	v_mov_b32_e32 v66, v83
	v_pk_add_f32 v[74:75], v[74:75], v[164:165]
	v_mov_b32_e32 v169, v150
	v_pk_add_f32 v[74:75], v[74:75], v[78:79]
	v_mov_b32_e32 v87, v73
	v_pk_add_f32 v[74:75], v[74:75], v[144:145]
	v_pk_add_f32 v[154:155], v[130:131], v[66:67] neg_lo:[0,1] neg_hi:[0,1]
	v_pk_add_f32 v[74:75], v[74:75], v[124:125]
	v_mov_b32_e32 v66, v172
	v_pk_add_f32 v[74:75], v[74:75], v[84:85]
	v_pk_mul_f32 v[76:77], v[168:169], s[2:3]
	v_mov_b32_e32 v73, v130
	v_pk_add_f32 v[146:147], v[162:163], v[78:79]
	v_pk_add_f32 v[130:131], v[162:163], v[78:79] neg_lo:[0,1] neg_hi:[0,1]
	v_pk_add_f32 v[140:141], v[74:75], v[86:87]
	v_pk_fma_f32 v[78:79], v[172:173], s[34:35], v[76:77] neg_lo:[1,0,0] neg_hi:[1,0,0]
	v_pk_fma_f32 v[74:75], v[66:67], s[34:35], v[76:77]
	v_mov_b32_e32 v171, v132
	s_mov_b32 s2, s17
	s_mov_b32 s3, s16
	v_mov_b32_e32 v79, v75
	v_mov_b32_e32 v70, v174
	v_pk_mul_f32 v[80:81], v[170:171], s[2:3]
	v_pk_add_f32 v[72:73], v[72:73], v[82:83]
	v_pk_add_f32 v[82:83], v[64:65], v[78:79]
	v_pk_fma_f32 v[84:85], v[174:175], s[16:17], v[80:81] neg_lo:[1,0,0] neg_hi:[1,0,0]
	v_pk_fma_f32 v[78:79], v[70:71], s[16:17], v[80:81]
	v_mov_b32_e32 v149, v126
	v_mov_b32_e32 v85, v79
	v_pk_add_f32 v[86:87], v[84:85], v[82:83]
	v_mov_b32_e32 v72, v154
	v_pk_mul_f32 v[84:85], v[148:149], s[28:29]
	v_pk_add_f32 v[152:153], v[134:135], v[144:145]
	v_pk_fma_f32 v[124:125], v[154:155], s[22:23], v[84:85] neg_lo:[1,0,0] neg_hi:[1,0,0]
	v_pk_fma_f32 v[82:83], v[72:73], s[22:23], v[84:85]
	v_pk_add_f32 v[128:129], v[134:135], v[144:145] neg_lo:[0,1] neg_hi:[0,1]
	v_mov_b32_e32 v125, v83
	v_pk_add_f32 v[132:133], v[124:125], v[86:87]
	v_mov_b32_e32 v87, v153
	v_mov_b32_e32 v153, v128
	;; [unrolled: 1-line block ×3, first 2 shown]
	v_pk_mul_f32 v[126:127], v[152:153], s[30:31]
	v_pk_add_f32 v[142:143], v[136:137], v[164:165]
	v_pk_fma_f32 v[128:129], v[86:87], s[10:11], v[126:127] neg_lo:[1,0,0] neg_hi:[1,0,0]
	v_pk_fma_f32 v[124:125], v[86:87], s[10:11], v[126:127]
	v_pk_add_f32 v[158:159], v[136:137], v[164:165] neg_lo:[0,1] neg_hi:[0,1]
	v_mov_b32_e32 v129, v125
	v_pk_add_f32 v[134:135], v[128:129], v[132:133]
	v_mov_b32_e32 v129, v147
	v_mov_b32_e32 v147, v130
	;; [unrolled: 1-line block ×3, first 2 shown]
	v_pk_mul_f32 v[132:133], v[146:147], s[36:37]
	v_pk_mul_f32 v[156:157], v[168:169], s[2:3]
	v_pk_fma_f32 v[136:137], v[128:129], s[14:15], v[132:133] neg_lo:[1,0,0] neg_hi:[1,0,0]
	v_pk_fma_f32 v[130:131], v[128:129], s[14:15], v[132:133]
	v_pk_fma_f32 v[182:183], v[172:173], s[16:17], v[156:157] neg_lo:[1,0,0] neg_hi:[1,0,0]
	v_mov_b32_e32 v137, v131
	v_pk_add_f32 v[144:145], v[136:137], v[134:135]
	v_mov_b32_e32 v135, v143
	v_mov_b32_e32 v143, v158
	;; [unrolled: 1-line block ×3, first 2 shown]
	v_pk_mul_f32 v[138:139], v[142:143], s[42:43]
	v_pk_mul_f32 v[160:161], v[170:171], s[30:31]
	v_pk_fma_f32 v[150:151], v[134:135], s[18:19], v[138:139] neg_lo:[1,0,0] neg_hi:[1,0,0]
	v_pk_fma_f32 v[136:137], v[134:135], s[18:19], v[138:139]
	v_pk_fma_f32 v[184:185], v[174:175], s[10:11], v[160:161] neg_lo:[1,0,0] neg_hi:[1,0,0]
	v_mov_b32_e32 v151, v137
	v_pk_add_f32 v[144:145], v[150:151], v[144:145]
	ds_write2_b64 v88, v[140:141], v[144:145] offset1:117
	v_pk_fma_f32 v[140:141], v[66:67], s[16:17], v[156:157]
	v_pk_fma_f32 v[144:145], v[70:71], s[10:11], v[160:161]
	v_mov_b32_e32 v183, v141
	v_pk_mul_f32 v[162:163], v[148:149], s[42:43]
	v_mov_b32_e32 v185, v145
	v_pk_fma_f32 v[186:187], v[154:155], s[18:19], v[162:163] neg_lo:[1,0,0] neg_hi:[1,0,0]
	v_pk_fma_f32 v[150:151], v[72:73], s[18:19], v[162:163]
	v_pk_mul_f32 v[166:167], v[152:153], s[38:39]
	v_pk_add_f32 v[182:183], v[64:65], v[182:183]
	v_mov_b32_e32 v187, v151
	v_pk_fma_f32 v[188:189], v[86:87], s[26:27], v[166:167] neg_lo:[1,0,0] neg_hi:[1,0,0]
	v_pk_fma_f32 v[158:159], v[86:87], s[26:27], v[166:167]
	v_pk_mul_f32 v[176:177], v[146:147], s[44:45]
	v_pk_add_f32 v[182:183], v[184:185], v[182:183]
	;; [unrolled: 5-line block ×3, first 2 shown]
	v_mov_b32_e32 v191, v165
	v_pk_fma_f32 v[192:193], v[134:135], s[24:25], v[180:181] neg_lo:[1,0,0] neg_hi:[1,0,0]
	v_pk_fma_f32 v[178:179], v[134:135], s[24:25], v[180:181]
	v_pk_add_f32 v[182:183], v[188:189], v[182:183]
	v_mov_b32_e32 v193, v179
	v_pk_add_f32 v[182:183], v[190:191], v[182:183]
	v_pk_mul_f32 v[188:189], v[168:169], s[28:29]
	v_pk_add_f32 v[222:223], v[192:193], v[182:183]
	v_pk_fma_f32 v[224:225], v[172:173], s[22:23], v[188:189] neg_lo:[1,0,0] neg_hi:[1,0,0]
	v_pk_fma_f32 v[182:183], v[66:67], s[22:23], v[188:189]
	v_pk_mul_f32 v[192:193], v[170:171], s[42:43]
	v_mov_b32_e32 v225, v183
	v_pk_fma_f32 v[226:227], v[174:175], s[18:19], v[192:193] neg_lo:[1,0,0] neg_hi:[1,0,0]
	v_pk_fma_f32 v[184:185], v[70:71], s[18:19], v[192:193]
	v_pk_mul_f32 v[196:197], v[148:149], s[48:49]
	v_mov_b32_e32 v227, v185
	v_pk_fma_f32 v[228:229], v[154:155], s[40:41], v[196:197] neg_lo:[1,0,0] neg_hi:[1,0,0]
	v_pk_fma_f32 v[186:187], v[72:73], s[40:41], v[196:197]
	v_pk_mul_f32 v[200:201], v[152:153], s[46:47]
	v_pk_add_f32 v[224:225], v[64:65], v[224:225]
	v_mov_b32_e32 v229, v187
	v_pk_fma_f32 v[230:231], v[86:87], s[24:25], v[200:201] neg_lo:[1,0,0] neg_hi:[1,0,0]
	v_pk_fma_f32 v[190:191], v[86:87], s[24:25], v[200:201]
	v_pk_mul_f32 v[202:203], v[146:147], s[2:3]
	v_pk_add_f32 v[224:225], v[226:227], v[224:225]
	;; [unrolled: 5-line block ×3, first 2 shown]
	v_mov_b32_e32 v233, v195
	v_pk_fma_f32 v[234:235], v[134:135], s[14:15], v[204:205] neg_lo:[1,0,0] neg_hi:[1,0,0]
	v_pk_fma_f32 v[198:199], v[134:135], s[14:15], v[204:205]
	v_pk_add_f32 v[224:225], v[230:231], v[224:225]
	v_mov_b32_e32 v235, v199
	v_pk_add_f32 v[224:225], v[232:233], v[224:225]
	v_pk_mul_f32 v[228:229], v[170:171], s[38:39]
	v_pk_add_f32 v[224:225], v[234:235], v[224:225]
	ds_write2_b64 v216, v[222:223], v[224:225] offset0:106 offset1:223
	v_pk_mul_f32 v[222:223], v[168:169], s[30:31]
	v_pk_fma_f32 v[230:231], v[174:175], s[26:27], v[228:229] neg_lo:[1,0,0] neg_hi:[1,0,0]
	v_pk_fma_f32 v[224:225], v[172:173], s[10:11], v[222:223] neg_lo:[1,0,0] neg_hi:[1,0,0]
	v_pk_fma_f32 v[226:227], v[66:67], s[10:11], v[222:223]
	v_pk_fma_f32 v[232:233], v[70:71], s[26:27], v[228:229]
	v_mov_b32_e32 v225, v227
	v_mov_b32_e32 v231, v233
	v_pk_mul_f32 v[234:235], v[148:149], s[46:47]
	v_pk_add_f32 v[224:225], v[64:65], v[224:225]
	v_pk_fma_f32 v[236:237], v[72:73], s[24:25], v[234:235]
	v_pk_add_f32 v[224:225], v[230:231], v[224:225]
	v_pk_fma_f32 v[230:231], v[154:155], s[24:25], v[234:235] neg_lo:[1,0,0] neg_hi:[1,0,0]
	s_mov_b32 s38, 0x3e750f2a
	v_mov_b32_e32 v231, v237
	v_pk_add_f32 v[224:225], v[230:231], v[224:225]
	v_pk_mul_f32 v[230:231], v[152:153], s[28:29]
	s_mov_b32 s48, s19
	v_pk_fma_f32 v[238:239], v[86:87], s[22:23], v[230:231] neg_lo:[1,0,0] neg_hi:[1,0,0]
	v_pk_fma_f32 v[240:241], v[86:87], s[22:23], v[230:231]
	s_mov_b32 s49, s38
	v_mov_b32_e32 v239, v241
	v_pk_add_f32 v[224:225], v[238:239], v[224:225]
	s_mov_b32 s39, s19
	v_pk_mul_f32 v[238:239], v[146:147], s[48:49]
	s_mov_b32 s28, 0x3f52af12
	v_pk_fma_f32 v[242:243], v[128:129], s[38:39], v[238:239] neg_lo:[1,0,0] neg_hi:[1,0,0]
	v_pk_fma_f32 v[244:245], v[128:129], s[38:39], v[238:239]
	s_mov_b32 s51, s28
	v_mov_b32_e32 v243, v245
	v_pk_add_f32 v[224:225], v[242:243], v[224:225]
	s_mov_b32 s29, s17
	v_pk_mul_f32 v[242:243], v[142:143], s[50:51]
	v_pk_mul_f32 v[254:255], v[170:171], s[44:45]
	v_pk_fma_f32 v[246:247], v[134:135], s[28:29], v[242:243] neg_lo:[1,0,0] neg_hi:[1,0,0]
	v_pk_fma_f32 v[248:249], v[134:135], s[28:29], v[242:243]
	v_pk_fma_f32 v[206:207], v[174:175], s[20:21], v[254:255] neg_lo:[1,0,0] neg_hi:[1,0,0]
	v_mov_b32_e32 v247, v249
	v_pk_add_f32 v[224:225], v[246:247], v[224:225]
	v_pk_mul_f32 v[246:247], v[168:169], s[36:37]
	v_pk_fma_f32 v[208:209], v[70:71], s[20:21], v[254:255]
	v_pk_fma_f32 v[250:251], v[172:173], s[14:15], v[246:247] neg_lo:[1,0,0] neg_hi:[1,0,0]
	v_pk_fma_f32 v[252:253], v[66:67], s[14:15], v[246:247]
	v_mov_b32_e32 v207, v209
	v_mov_b32_e32 v251, v253
	v_pk_add_f32 v[250:251], v[64:65], v[250:251]
	v_mov_b32_e32 v89, v69
	v_pk_add_f32 v[206:207], v[206:207], v[250:251]
	v_pk_mul_f32 v[250:251], v[148:149], s[2:3]
	v_pk_fma_f32 v[68:69], v[66:67], s[14:15], v[246:247] neg_lo:[0,0,1] neg_hi:[0,0,1]
	v_pk_fma_f32 v[210:211], v[154:155], s[16:17], v[250:251] neg_lo:[1,0,0] neg_hi:[1,0,0]
	v_pk_fma_f32 v[212:213], v[72:73], s[16:17], v[250:251]
	v_mov_b32_e32 v253, v69
	v_mov_b32_e32 v211, v213
	v_pk_add_f32 v[206:207], v[210:211], v[206:207]
	v_pk_mul_f32 v[210:211], v[152:153], s[48:49]
	v_pk_fma_f32 v[68:69], v[70:71], s[20:21], v[254:255] neg_lo:[0,0,1] neg_hi:[0,0,1]
	v_pk_fma_f32 v[214:215], v[86:87], s[38:39], v[210:211] neg_lo:[1,0,0] neg_hi:[1,0,0]
	v_pk_fma_f32 v[90:91], v[86:87], s[38:39], v[210:211]
	v_mov_b32_e32 v209, v69
	;; [unrolled: 7-line block ×3, first 2 shown]
	v_mov_b32_e32 v93, v95
	v_pk_fma_f32 v[68:69], v[86:87], s[38:39], v[210:211] neg_lo:[0,0,1] neg_hi:[0,0,1]
	v_pk_add_f32 v[92:93], v[92:93], v[206:207]
	v_pk_mul_f32 v[206:207], v[142:143], s[30:31]
	v_mov_b32_e32 v91, v69
	v_pk_fma_f32 v[68:69], v[128:129], s[24:25], v[214:215] neg_lo:[0,0,1] neg_hi:[0,0,1]
	v_pk_fma_f32 v[98:99], v[134:135], s[10:11], v[206:207] neg_lo:[1,0,0] neg_hi:[1,0,0]
	v_pk_fma_f32 v[100:101], v[134:135], s[10:11], v[206:207]
	v_mov_b32_e32 v95, v69
	v_pk_fma_f32 v[68:69], v[134:135], s[10:11], v[206:207] neg_lo:[0,0,1] neg_hi:[0,0,1]
	v_mov_b32_e32 v99, v101
	v_mov_b32_e32 v101, v69
	v_pk_add_f32 v[68:69], v[64:65], v[252:253]
	v_pk_add_f32 v[92:93], v[98:99], v[92:93]
	;; [unrolled: 1-line block ×3, first 2 shown]
	ds_write2_b64 v217, v[224:225], v[92:93] offset0:84 offset1:201
	v_pk_add_f32 v[68:69], v[212:213], v[68:69]
	v_pk_mul_f32 v[92:93], v[168:169], s[42:43]
	v_pk_add_f32 v[68:69], v[90:91], v[68:69]
	v_pk_fma_f32 v[90:91], v[66:67], s[10:11], v[222:223] neg_lo:[0,0,1] neg_hi:[0,0,1]
	v_pk_fma_f32 v[98:99], v[172:173], s[18:19], v[92:93] neg_lo:[1,0,0] neg_hi:[1,0,0]
	v_mov_b32_e32 v227, v91
	v_pk_fma_f32 v[90:91], v[70:71], s[26:27], v[228:229] neg_lo:[0,0,1] neg_hi:[0,0,1]
	v_pk_fma_f32 v[168:169], v[66:67], s[18:19], v[92:93]
	v_mov_b32_e32 v233, v91
	v_pk_fma_f32 v[90:91], v[72:73], s[24:25], v[234:235] neg_lo:[0,0,1] neg_hi:[0,0,1]
	v_pk_mul_f32 v[170:171], v[170:171], s[46:47]
	v_mov_b32_e32 v237, v91
	v_pk_fma_f32 v[90:91], v[86:87], s[22:23], v[230:231] neg_lo:[0,0,1] neg_hi:[0,0,1]
	v_mov_b32_e32 v99, v169
	v_mov_b32_e32 v241, v91
	v_pk_fma_f32 v[90:91], v[128:129], s[38:39], v[238:239] neg_lo:[0,0,1] neg_hi:[0,0,1]
	v_pk_fma_f32 v[172:173], v[174:175], s[24:25], v[170:171] neg_lo:[1,0,0] neg_hi:[1,0,0]
	v_mov_b32_e32 v245, v91
	v_pk_fma_f32 v[90:91], v[134:135], s[28:29], v[242:243] neg_lo:[0,0,1] neg_hi:[0,0,1]
	v_pk_fma_f32 v[174:175], v[70:71], s[24:25], v[170:171]
	v_mov_b32_e32 v249, v91
	v_pk_add_f32 v[90:91], v[64:65], v[226:227]
	v_mov_b32_e32 v173, v175
	v_pk_add_f32 v[90:91], v[232:233], v[90:91]
	v_pk_add_f32 v[98:99], v[64:65], v[98:99]
	;; [unrolled: 1-line block ×3, first 2 shown]
	v_pk_mul_f32 v[148:149], v[148:149], s[36:37]
	v_pk_add_f32 v[90:91], v[240:241], v[90:91]
	v_pk_add_f32 v[98:99], v[172:173], v[98:99]
	v_pk_fma_f32 v[154:155], v[154:155], s[14:15], v[148:149] neg_lo:[1,0,0] neg_hi:[1,0,0]
	v_pk_fma_f32 v[172:173], v[72:73], s[14:15], v[148:149]
	v_pk_add_f32 v[68:69], v[94:95], v[68:69]
	v_pk_add_f32 v[90:91], v[244:245], v[90:91]
	v_mov_b32_e32 v155, v173
	v_pk_mul_f32 v[152:153], v[152:153], s[50:51]
	v_pk_fma_f32 v[92:93], v[66:67], s[18:19], v[92:93] neg_lo:[0,0,1] neg_hi:[0,0,1]
	v_pk_add_f32 v[68:69], v[100:101], v[68:69]
	v_pk_add_f32 v[90:91], v[248:249], v[90:91]
	;; [unrolled: 1-line block ×3, first 2 shown]
	v_pk_fma_f32 v[154:155], v[86:87], s[28:29], v[152:153] neg_lo:[1,0,0] neg_hi:[1,0,0]
	v_pk_fma_f32 v[224:225], v[86:87], s[28:29], v[152:153]
	v_mov_b32_e32 v169, v93
	v_pk_fma_f32 v[92:93], v[70:71], s[24:25], v[170:171] neg_lo:[0,0,1] neg_hi:[0,0,1]
	ds_write2_b64 v220, v[68:69], v[90:91] offset0:40 offset1:157
	v_pk_fma_f32 v[68:69], v[66:67], s[22:23], v[188:189] neg_lo:[0,0,1] neg_hi:[0,0,1]
	v_pk_fma_f32 v[90:91], v[66:67], s[16:17], v[156:157] neg_lo:[0,0,1] neg_hi:[0,0,1]
	v_mov_b32_e32 v155, v225
	v_pk_mul_f32 v[146:147], v[146:147], s[30:31]
	v_mov_b32_e32 v175, v93
	v_pk_fma_f32 v[92:93], v[72:73], s[14:15], v[148:149] neg_lo:[0,0,1] neg_hi:[0,0,1]
	v_mov_b32_e32 v183, v69
	v_pk_fma_f32 v[68:69], v[70:71], s[18:19], v[192:193] neg_lo:[0,0,1] neg_hi:[0,0,1]
	;; [unrolled: 2-line block ×3, first 2 shown]
	v_pk_add_f32 v[98:99], v[154:155], v[98:99]
	v_pk_fma_f32 v[154:155], v[128:129], s[10:11], v[146:147] neg_lo:[1,0,0] neg_hi:[1,0,0]
	v_pk_fma_f32 v[104:105], v[128:129], s[10:11], v[146:147]
	v_mov_b32_e32 v173, v93
	v_pk_fma_f32 v[92:93], v[86:87], s[28:29], v[152:153] neg_lo:[0,0,1] neg_hi:[0,0,1]
	v_mov_b32_e32 v185, v69
	v_pk_fma_f32 v[68:69], v[72:73], s[40:41], v[196:197] neg_lo:[0,0,1] neg_hi:[0,0,1]
	;; [unrolled: 2-line block ×3, first 2 shown]
	v_mov_b32_e32 v155, v105
	v_pk_mul_f32 v[142:143], v[142:143], s[44:45]
	v_mov_b32_e32 v225, v93
	v_pk_fma_f32 v[92:93], v[128:129], s[10:11], v[146:147] neg_lo:[0,0,1] neg_hi:[0,0,1]
	v_mov_b32_e32 v187, v69
	v_pk_fma_f32 v[68:69], v[86:87], s[24:25], v[200:201] neg_lo:[0,0,1] neg_hi:[0,0,1]
	;; [unrolled: 2-line block ×3, first 2 shown]
	v_pk_add_f32 v[98:99], v[154:155], v[98:99]
	v_pk_fma_f32 v[154:155], v[134:135], s[20:21], v[142:143] neg_lo:[1,0,0] neg_hi:[1,0,0]
	v_pk_fma_f32 v[106:107], v[134:135], s[20:21], v[142:143]
	v_mov_b32_e32 v105, v93
	v_pk_fma_f32 v[92:93], v[134:135], s[20:21], v[142:143] neg_lo:[0,0,1] neg_hi:[0,0,1]
	v_mov_b32_e32 v191, v69
	v_pk_fma_f32 v[68:69], v[128:129], s[16:17], v[202:203] neg_lo:[0,0,1] neg_hi:[0,0,1]
	;; [unrolled: 2-line block ×3, first 2 shown]
	v_pk_fma_f32 v[66:67], v[66:67], s[34:35], v[76:77] neg_lo:[0,0,1] neg_hi:[0,0,1]
	v_mov_b32_e32 v155, v107
	v_mov_b32_e32 v107, v93
	v_pk_add_f32 v[92:93], v[64:65], v[168:169]
	v_mov_b32_e32 v195, v69
	v_pk_fma_f32 v[68:69], v[134:135], s[14:15], v[204:205] neg_lo:[0,0,1] neg_hi:[0,0,1]
	v_mov_b32_e32 v165, v91
	v_pk_fma_f32 v[90:91], v[134:135], s[24:25], v[180:181] neg_lo:[0,0,1] neg_hi:[0,0,1]
	;; [unrolled: 2-line block ×3, first 2 shown]
	v_pk_add_f32 v[92:93], v[174:175], v[92:93]
	v_mov_b32_e32 v199, v69
	v_pk_add_f32 v[68:69], v[64:65], v[182:183]
	v_mov_b32_e32 v179, v91
	v_pk_add_f32 v[90:91], v[64:65], v[140:141]
	v_pk_add_f32 v[64:65], v[64:65], v[74:75]
	v_mov_b32_e32 v79, v67
	v_pk_fma_f32 v[66:67], v[72:73], s[22:23], v[84:85] neg_lo:[0,0,1] neg_hi:[0,0,1]
	v_pk_add_f32 v[92:93], v[172:173], v[92:93]
	v_pk_add_f32 v[64:65], v[78:79], v[64:65]
	v_mov_b32_e32 v83, v67
	v_pk_fma_f32 v[66:67], v[86:87], s[10:11], v[126:127] neg_lo:[0,0,1] neg_hi:[0,0,1]
	;; [unrolled: 4-line block ×3, first 2 shown]
	v_pk_add_f32 v[92:93], v[104:105], v[92:93]
	v_pk_add_f32 v[68:69], v[184:185], v[68:69]
	v_pk_add_f32 v[90:91], v[144:145], v[90:91]
	v_pk_add_f32 v[64:65], v[124:125], v[64:65]
	v_mov_b32_e32 v131, v67
	v_pk_fma_f32 v[66:67], v[134:135], s[18:19], v[138:139] neg_lo:[0,0,1] neg_hi:[0,0,1]
	v_pk_add_f32 v[98:99], v[154:155], v[98:99]
	v_pk_add_f32 v[92:93], v[106:107], v[92:93]
	;; [unrolled: 1-line block ×5, first 2 shown]
	v_mov_b32_e32 v137, v67
	ds_write2_b64 v218, v[98:99], v[92:93] offset0:62 offset1:179
	v_lshl_add_u64 v[92:93], s[8:9], 0, v[88:89]
	v_pk_add_f32 v[68:69], v[190:191], v[68:69]
	v_pk_add_f32 v[90:91], v[158:159], v[90:91]
	;; [unrolled: 1-line block ×3, first 2 shown]
	s_movk_i32 s2, 0x2000
	v_pk_add_f32 v[68:69], v[194:195], v[68:69]
	v_pk_add_f32 v[90:91], v[164:165], v[90:91]
	ds_write_b64 v88, v[64:65] offset:11232
	v_add_co_u32_e64 v64, s[2:3], s2, v92
	v_pk_add_f32 v[68:69], v[198:199], v[68:69]
	v_pk_add_f32 v[90:91], v[178:179], v[90:91]
	v_addc_co_u32_e64 v65, s[2:3], 0, v93, s[2:3]
	ds_write2_b64 v219, v[68:69], v[90:91] offset0:18 offset1:135
	s_waitcnt lgkmcnt(0)
	s_barrier
	global_load_dwordx2 v[68:69], v[64:65], off offset:3976
	s_mov_b64 s[2:3], 0x2f88
	v_lshl_add_u64 v[64:65], v[92:93], 0, s[2:3]
	global_load_dwordx2 v[70:71], v[64:65], off offset:936
	global_load_dwordx2 v[72:73], v[64:65], off offset:1872
	;; [unrolled: 1-line block ×4, first 2 shown]
	s_movk_i32 s2, 0x4000
	v_add_co_u32_e64 v64, s[2:3], s2, v92
	s_mov_b32 s44, s35
	s_nop 0
	v_addc_co_u32_e64 v65, s[2:3], 0, v93, s[2:3]
	global_load_dwordx2 v[78:79], v[64:65], off offset:464
	global_load_dwordx2 v[80:81], v[64:65], off offset:1400
	;; [unrolled: 1-line block ×4, first 2 shown]
	s_movk_i32 s2, 0x5000
	v_add_co_u32_e64 v64, s[2:3], s2, v92
	s_mov_b32 s8, s23
	s_nop 0
	v_addc_co_u32_e64 v65, s[2:3], 0, v93, s[2:3]
	global_load_dwordx2 v[86:87], v[64:65], off offset:112
	global_load_dwordx2 v[90:91], v[64:65], off offset:1048
	;; [unrolled: 1-line block ×4, first 2 shown]
	ds_read2_b64 v[64:67], v88 offset1:117
	s_mov_b32 s2, s17
	s_waitcnt vmcnt(12) lgkmcnt(0)
	v_mul_f32_e32 v89, v65, v69
	v_mul_f32_e32 v99, v64, v69
	v_fma_f32 v98, v64, v68, -v89
	v_fmac_f32_e32 v99, v65, v68
	s_waitcnt vmcnt(11)
	v_mul_f32_e32 v64, v67, v71
	v_mul_f32_e32 v65, v66, v71
	v_fma_f32 v64, v66, v70, -v64
	v_fmac_f32_e32 v65, v67, v70
	ds_write2_b64 v88, v[98:99], v[64:65] offset1:117
	ds_read2_b64 v[64:67], v216 offset0:106 offset1:223
	s_waitcnt vmcnt(10) lgkmcnt(0)
	v_mul_f32_e32 v68, v65, v73
	v_fma_f32 v98, v64, v72, -v68
	ds_read2_b64 v[68:71], v217 offset0:84 offset1:201
	v_mul_f32_e32 v99, v64, v73
	v_fmac_f32_e32 v99, v65, v72
	s_waitcnt vmcnt(9)
	v_mul_f32_e32 v64, v67, v75
	v_mul_f32_e32 v65, v66, v75
	v_fma_f32 v64, v66, v74, -v64
	v_fmac_f32_e32 v65, v67, v74
	ds_write2_b64 v216, v[98:99], v[64:65] offset0:106 offset1:223
	s_waitcnt vmcnt(8) lgkmcnt(1)
	v_mul_f32_e32 v64, v69, v77
	v_fma_f32 v72, v68, v76, -v64
	ds_read2_b64 v[64:67], v218 offset0:62 offset1:179
	v_mul_f32_e32 v73, v68, v77
	v_fmac_f32_e32 v73, v69, v76
	s_waitcnt vmcnt(7)
	v_mul_f32_e32 v68, v71, v79
	v_mul_f32_e32 v69, v70, v79
	v_fma_f32 v68, v70, v78, -v68
	v_fmac_f32_e32 v69, v71, v78
	ds_write2_b64 v217, v[72:73], v[68:69] offset0:84 offset1:201
	;; [unrolled: 12-line block ×4, first 2 shown]
	s_waitcnt vmcnt(2) lgkmcnt(1)
	v_mul_f32_e32 v68, v65, v91
	v_mul_f32_e32 v69, v64, v91
	v_fma_f32 v68, v64, v90, -v68
	v_fmac_f32_e32 v69, v65, v90
	ds_read_b64 v[64:65], v88 offset:11232
	s_waitcnt vmcnt(1)
	v_mul_f32_e32 v70, v67, v93
	v_mul_f32_e32 v71, v66, v93
	v_fma_f32 v70, v66, v92, -v70
	v_fmac_f32_e32 v71, v67, v92
	s_waitcnt vmcnt(0) lgkmcnt(0)
	v_mul_f32_e32 v66, v65, v95
	v_mul_f32_e32 v67, v64, v95
	v_fma_f32 v66, v64, v94, -v66
	v_fmac_f32_e32 v67, v65, v94
	ds_write2_b64 v219, v[68:69], v[70:71] offset0:18 offset1:135
	ds_write_b64 v88, v[66:67] offset:11232
	s_waitcnt lgkmcnt(0)
	s_barrier
	ds_read2_b64 v[68:71], v216 offset0:106 offset1:223
	ds_read2_b64 v[72:75], v217 offset0:84 offset1:201
	ds_read2_b64 v[64:67], v88 offset1:117
	ds_read2_b64 v[76:79], v218 offset0:62 offset1:179
	ds_read2_b64 v[80:83], v220 offset0:40 offset1:157
	ds_read2_b64 v[84:87], v219 offset0:18 offset1:135
	ds_read_b64 v[90:91], v88 offset:11232
	s_waitcnt lgkmcnt(4)
	v_pk_add_f32 v[92:93], v[64:65], v[66:67]
	s_waitcnt lgkmcnt(3)
	v_pk_add_f32 v[158:159], v[78:79], v[76:77]
	v_pk_add_f32 v[92:93], v[92:93], v[68:69]
	s_waitcnt lgkmcnt(1)
	v_pk_add_f32 v[134:135], v[68:69], v[86:87] neg_lo:[0,1] neg_hi:[0,1]
	v_pk_add_f32 v[92:93], v[92:93], v[70:71]
	s_waitcnt lgkmcnt(0)
	v_pk_add_f32 v[128:129], v[66:67], v[90:91] neg_lo:[0,1] neg_hi:[0,1]
	v_pk_add_f32 v[92:93], v[92:93], v[72:73]
	v_pk_add_f32 v[126:127], v[90:91], v[66:67]
	;; [unrolled: 1-line block ×3, first 2 shown]
	v_pk_mul_f32 v[66:67], v[128:129], s[34:35] op_sel_hi:[1,0]
	v_pk_add_f32 v[92:93], v[92:93], v[76:77]
	v_pk_fma_f32 v[140:141], v[126:127], s[44:45], v[66:67] op_sel:[0,0,1] op_sel_hi:[1,0,0]
	v_pk_add_f32 v[92:93], v[92:93], v[78:79]
	v_pk_fma_f32 v[138:139], v[126:127], s[44:45], v[66:67] op_sel:[0,0,1] op_sel_hi:[1,0,0] neg_lo:[0,0,1] neg_hi:[0,0,1]
	v_pk_add_f32 v[92:93], v[92:93], v[80:81]
	v_pk_add_f32 v[130:131], v[86:87], v[68:69]
	v_pk_mul_f32 v[68:69], v[134:135], s[16:17] op_sel_hi:[1,0]
	v_pk_add_f32 v[146:147], v[80:81], v[74:75]
	v_pk_add_f32 v[156:157], v[74:75], v[80:81] neg_lo:[0,1] neg_hi:[0,1]
	v_pk_mul_f32 v[80:81], v[128:129], s[16:17] op_sel_hi:[1,0]
	v_pk_add_f32 v[92:93], v[92:93], v[82:83]
	v_mov_b32_e32 v66, v140
	v_mov_b32_e32 v67, v139
	v_pk_fma_f32 v[154:155], v[130:131], s[2:3], v[68:69] op_sel:[0,0,1] op_sel_hi:[1,0,0]
	v_pk_fma_f32 v[152:153], v[130:131], s[2:3], v[68:69] op_sel:[0,0,1] op_sel_hi:[1,0,0] neg_lo:[0,0,1] neg_hi:[0,0,1]
	v_pk_add_f32 v[164:165], v[76:77], v[78:79] neg_lo:[0,1] neg_hi:[0,1]
	v_pk_fma_f32 v[78:79], v[126:127], s[2:3], v[80:81] op_sel:[0,0,1] op_sel_hi:[1,0,0]
	v_pk_fma_f32 v[80:81], v[126:127], s[2:3], v[80:81] op_sel:[0,0,1] op_sel_hi:[1,0,0] neg_lo:[0,0,1] neg_hi:[0,0,1]
	v_pk_add_f32 v[92:93], v[92:93], v[84:85]
	v_pk_add_f32 v[66:67], v[64:65], v[66:67]
	v_mov_b32_e32 v68, v154
	v_mov_b32_e32 v69, v153
	v_pk_add_f32 v[132:133], v[84:85], v[70:71]
	v_pk_add_f32 v[136:137], v[70:71], v[84:85] neg_lo:[0,1] neg_hi:[0,1]
	v_pk_add_f32 v[142:143], v[82:83], v[72:73]
	v_pk_add_f32 v[144:145], v[72:73], v[82:83] neg_lo:[0,1] neg_hi:[0,1]
	v_mov_b32_e32 v82, v78
	v_mov_b32_e32 v83, v81
	v_pk_mul_f32 v[84:85], v[134:135], s[10:11] op_sel_hi:[1,0]
	v_pk_add_f32 v[92:93], v[92:93], v[86:87]
	v_pk_add_f32 v[66:67], v[68:69], v[66:67]
	v_pk_mul_f32 v[68:69], v[136:137], s[22:23] op_sel_hi:[1,0]
	v_mov_b32_e32 v74, v142
	v_mov_b32_e32 v75, v144
	v_pk_add_f32 v[86:87], v[64:65], v[82:83]
	v_pk_fma_f32 v[82:83], v[130:131], s[30:31], v[84:85] op_sel:[0,0,1] op_sel_hi:[1,0,0]
	v_pk_fma_f32 v[84:85], v[130:131], s[30:31], v[84:85] op_sel:[0,0,1] op_sel_hi:[1,0,0] neg_lo:[0,0,1] neg_hi:[0,0,1]
	v_pk_fma_f32 v[172:173], v[132:133], s[8:9], v[68:69] op_sel:[0,0,1] op_sel_hi:[1,0,0]
	v_pk_fma_f32 v[174:175], v[132:133], s[8:9], v[68:69] op_sel:[0,0,1] op_sel_hi:[1,0,0] neg_lo:[0,0,1] neg_hi:[0,0,1]
	v_pk_mul_f32 v[104:105], v[74:75], s[30:31]
	v_mov_b32_e32 v74, v146
	v_mov_b32_e32 v75, v156
	;; [unrolled: 1-line block ×6, first 2 shown]
	v_pk_mul_f32 v[160:161], v[74:75], s[36:37]
	v_pk_add_f32 v[178:179], v[124:125], v[86:87]
	s_mov_b32 s36, s19
	v_pk_mul_f32 v[124:125], v[136:137], s[18:19] op_sel_hi:[1,0]
	v_pk_add_f32 v[92:93], v[92:93], v[90:91]
	v_pk_add_f32 v[90:91], v[68:69], v[66:67]
	s_mov_b32 s34, s15
	v_pk_mul_f32 v[66:67], v[144:145], s[26:27] op_sel_hi:[1,0]
	v_pk_fma_f32 v[86:87], v[132:133], s[36:37], v[124:125] op_sel:[0,0,1] op_sel_hi:[1,0,0]
	v_pk_fma_f32 v[124:125], v[132:133], s[36:37], v[124:125] op_sel:[0,0,1] op_sel_hi:[1,0,0] neg_lo:[0,0,1] neg_hi:[0,0,1]
	v_pk_fma_f32 v[70:71], v[142:143], s[34:35], v[66:67] op_sel:[0,0,1] op_sel_hi:[1,0,0]
	v_pk_fma_f32 v[66:67], v[142:143], s[34:35], v[66:67] op_sel:[0,0,1] op_sel_hi:[1,0,0] neg_lo:[0,0,1] neg_hi:[0,0,1]
	v_pk_mul_f32 v[68:69], v[156:157], s[20:21] op_sel_hi:[1,0]
	v_mov_b32_e32 v180, v86
	v_mov_b32_e32 v181, v125
	;; [unrolled: 1-line block ×4, first 2 shown]
	v_pk_fma_f32 v[72:73], v[146:147], s[8:9], v[68:69] op_sel:[0,0,1] op_sel_hi:[1,0,0]
	v_pk_fma_f32 v[68:69], v[146:147], s[8:9], v[68:69] op_sel:[0,0,1] op_sel_hi:[1,0,0] neg_lo:[0,0,1] neg_hi:[0,0,1]
	v_pk_add_f32 v[178:179], v[180:181], v[178:179]
	v_mov_b32_e32 v98, v72
	v_mov_b32_e32 v99, v69
	;; [unrolled: 1-line block ×4, first 2 shown]
	v_pk_add_f32 v[94:95], v[94:95], v[178:179]
	v_pk_fma_f32 v[106:107], v[100:101], s[10:11], v[104:105] neg_lo:[1,0,0] neg_hi:[1,0,0]
	v_pk_fma_f32 v[148:149], v[100:101], s[10:11], v[104:105]
	v_mov_b32_e32 v150, v157
	v_mov_b32_e32 v151, v147
	;; [unrolled: 1-line block ×4, first 2 shown]
	v_pk_add_f32 v[94:95], v[98:99], v[94:95]
	v_pk_fma_f32 v[98:99], v[100:101], s[10:11], v[104:105] neg_lo:[0,0,1] neg_hi:[0,0,1]
	v_mov_b32_e32 v107, v149
	v_pk_fma_f32 v[182:183], v[150:151], s[14:15], v[160:161] neg_lo:[1,0,0] neg_hi:[1,0,0]
	v_pk_fma_f32 v[162:163], v[150:151], s[14:15], v[160:161]
	v_mov_b32_e32 v166, v165
	v_mov_b32_e32 v167, v159
	v_pk_mul_f32 v[168:169], v[74:75], s[42:43]
	v_mov_b32_e32 v149, v99
	v_pk_fma_f32 v[98:99], v[150:151], s[14:15], v[160:161] neg_lo:[0,0,1] neg_hi:[0,0,1]
	v_mov_b32_e32 v183, v163
	v_pk_fma_f32 v[184:185], v[166:167], s[18:19], v[168:169] neg_lo:[1,0,0] neg_hi:[1,0,0]
	v_pk_fma_f32 v[170:171], v[166:167], s[18:19], v[168:169]
	v_pk_add_f32 v[90:91], v[148:149], v[90:91]
	v_mov_b32_e32 v163, v99
	v_pk_fma_f32 v[98:99], v[166:167], s[18:19], v[168:169] neg_lo:[0,0,1] neg_hi:[0,0,1]
	v_mov_b32_e32 v185, v171
	v_pk_add_f32 v[90:91], v[162:163], v[90:91]
	v_mov_b32_e32 v171, v99
	v_pk_add_f32 v[90:91], v[170:171], v[90:91]
	s_barrier
	ds_write2_b64 v103, v[92:93], v[90:91] offset1:1
	v_pk_mul_f32 v[90:91], v[128:129], s[22:23] op_sel_hi:[1,0]
	v_pk_mul_f32 v[92:93], v[134:135], s[18:19] op_sel_hi:[1,0]
	v_pk_fma_f32 v[148:149], v[126:127], s[8:9], v[90:91] op_sel:[0,0,1] op_sel_hi:[1,0,0]
	v_pk_fma_f32 v[150:151], v[126:127], s[8:9], v[90:91] op_sel:[0,0,1] op_sel_hi:[1,0,0] neg_lo:[0,0,1] neg_hi:[0,0,1]
	v_mov_b32_e32 v90, v148
	v_mov_b32_e32 v91, v151
	v_pk_fma_f32 v[160:161], v[130:131], s[36:37], v[92:93] op_sel:[0,0,1] op_sel_hi:[1,0,0]
	v_pk_fma_f32 v[162:163], v[130:131], s[36:37], v[92:93] op_sel:[0,0,1] op_sel_hi:[1,0,0] neg_lo:[0,0,1] neg_hi:[0,0,1]
	v_pk_add_f32 v[90:91], v[64:65], v[90:91]
	v_mov_b32_e32 v92, v160
	v_mov_b32_e32 v93, v163
	v_pk_add_f32 v[90:91], v[92:93], v[90:91]
	v_pk_mul_f32 v[92:93], v[136:137], s[40:41] op_sel_hi:[1,0]
	v_pk_mul_f32 v[74:75], v[164:165], s[24:25] op_sel_hi:[1,0]
	v_pk_fma_f32 v[168:169], v[132:133], s[30:31], v[92:93] op_sel:[0,0,1] op_sel_hi:[1,0,0]
	v_pk_fma_f32 v[170:171], v[132:133], s[30:31], v[92:93] op_sel:[0,0,1] op_sel_hi:[1,0,0] neg_lo:[0,0,1] neg_hi:[0,0,1]
	v_pk_fma_f32 v[76:77], v[158:159], s[44:45], v[74:75] op_sel:[0,0,1] op_sel_hi:[1,0,0]
	v_pk_fma_f32 v[74:75], v[158:159], s[44:45], v[74:75] op_sel:[0,0,1] op_sel_hi:[1,0,0] neg_lo:[0,0,1] neg_hi:[0,0,1]
	v_mov_b32_e32 v92, v168
	v_mov_b32_e32 v93, v171
	;; [unrolled: 1-line block ×4, first 2 shown]
	v_pk_add_f32 v[90:91], v[92:93], v[90:91]
	v_pk_mul_f32 v[92:93], v[144:145], s[24:25] op_sel_hi:[1,0]
	v_pk_add_f32 v[94:95], v[176:177], v[94:95]
	v_pk_fma_f32 v[176:177], v[142:143], s[44:45], v[92:93] op_sel:[0,0,1] op_sel_hi:[1,0,0]
	v_pk_fma_f32 v[166:167], v[142:143], s[44:45], v[92:93] op_sel:[0,0,1] op_sel_hi:[1,0,0] neg_lo:[0,0,1] neg_hi:[0,0,1]
	v_pk_mul_f32 v[98:99], v[156:157], s[16:17] op_sel_hi:[1,0]
	v_mov_b32_e32 v92, v176
	v_mov_b32_e32 v93, v167
	v_pk_fma_f32 v[180:181], v[146:147], s[2:3], v[98:99] op_sel:[0,0,1] op_sel_hi:[1,0,0]
	v_pk_fma_f32 v[178:179], v[146:147], s[2:3], v[98:99] op_sel:[0,0,1] op_sel_hi:[1,0,0] neg_lo:[0,0,1] neg_hi:[0,0,1]
	v_pk_mul_f32 v[100:101], v[164:165], s[14:15] op_sel_hi:[1,0]
	v_mov_b32_e32 v98, v180
	v_mov_b32_e32 v99, v179
	v_pk_fma_f32 v[104:105], v[158:159], s[34:35], v[100:101] op_sel:[0,0,1] op_sel_hi:[1,0,0]
	v_pk_fma_f32 v[100:101], v[158:159], s[34:35], v[100:101] op_sel:[0,0,1] op_sel_hi:[1,0,0] neg_lo:[0,0,1] neg_hi:[0,0,1]
	v_pk_add_f32 v[90:91], v[92:93], v[90:91]
	v_mov_b32_e32 v186, v104
	v_mov_b32_e32 v187, v101
	v_pk_add_f32 v[90:91], v[98:99], v[90:91]
	v_pk_mul_f32 v[98:99], v[134:135], s[26:27] op_sel_hi:[1,0]
	v_pk_add_f32 v[90:91], v[186:187], v[90:91]
	ds_write2_b64 v103, v[94:95], v[90:91] offset0:2 offset1:3
	v_pk_mul_f32 v[90:91], v[128:129], s[10:11] op_sel_hi:[1,0]
	v_pk_fma_f32 v[186:187], v[130:131], s[34:35], v[98:99] op_sel:[0,0,1] op_sel_hi:[1,0,0]
	v_pk_fma_f32 v[92:93], v[126:127], s[30:31], v[90:91] op_sel:[0,0,1] op_sel_hi:[1,0,0]
	v_pk_fma_f32 v[90:91], v[126:127], s[30:31], v[90:91] op_sel:[0,0,1] op_sel_hi:[1,0,0] neg_lo:[0,0,1] neg_hi:[0,0,1]
	v_mov_b32_e32 v94, v92
	v_mov_b32_e32 v95, v91
	v_pk_fma_f32 v[98:99], v[130:131], s[34:35], v[98:99] op_sel:[0,0,1] op_sel_hi:[1,0,0] neg_lo:[0,0,1] neg_hi:[0,0,1]
	v_pk_add_f32 v[94:95], v[64:65], v[94:95]
	v_mov_b32_e32 v188, v186
	v_mov_b32_e32 v189, v99
	v_pk_add_f32 v[94:95], v[188:189], v[94:95]
	v_pk_mul_f32 v[188:189], v[136:137], s[24:25] op_sel_hi:[1,0]
	v_pk_mul_f32 v[198:199], v[156:157], s[38:39] op_sel_hi:[1,0]
	v_pk_fma_f32 v[190:191], v[132:133], s[44:45], v[188:189] op_sel:[0,0,1] op_sel_hi:[1,0,0]
	v_pk_fma_f32 v[188:189], v[132:133], s[44:45], v[188:189] op_sel:[0,0,1] op_sel_hi:[1,0,0] neg_lo:[0,0,1] neg_hi:[0,0,1]
	v_mov_b32_e32 v192, v190
	v_mov_b32_e32 v193, v189
	v_pk_add_f32 v[94:95], v[192:193], v[94:95]
	v_pk_mul_f32 v[192:193], v[144:145], s[22:23] op_sel_hi:[1,0]
	v_pk_fma_f32 v[200:201], v[146:147], s[36:37], v[198:199] op_sel:[0,0,1] op_sel_hi:[1,0,0]
	v_pk_fma_f32 v[194:195], v[142:143], s[8:9], v[192:193] op_sel:[0,0,1] op_sel_hi:[1,0,0]
	v_pk_fma_f32 v[192:193], v[142:143], s[8:9], v[192:193] op_sel:[0,0,1] op_sel_hi:[1,0,0] neg_lo:[0,0,1] neg_hi:[0,0,1]
	v_mov_b32_e32 v196, v194
	v_mov_b32_e32 v197, v193
	v_pk_fma_f32 v[198:199], v[146:147], s[36:37], v[198:199] op_sel:[0,0,1] op_sel_hi:[1,0,0] neg_lo:[0,0,1] neg_hi:[0,0,1]
	v_pk_mul_f32 v[204:205], v[164:165], s[28:29] op_sel_hi:[1,0]
	v_mov_b32_e32 v202, v200
	v_mov_b32_e32 v203, v199
	v_pk_add_f32 v[94:95], v[196:197], v[94:95]
	v_pk_fma_f32 v[196:197], v[158:159], s[2:3], v[204:205] op_sel:[0,0,1] op_sel_hi:[1,0,0]
	v_pk_fma_f32 v[204:205], v[158:159], s[2:3], v[204:205] op_sel:[0,0,1] op_sel_hi:[1,0,0] neg_lo:[0,0,1] neg_hi:[0,0,1]
	v_pk_add_f32 v[94:95], v[202:203], v[94:95]
	v_mov_b32_e32 v202, v196
	v_mov_b32_e32 v203, v205
	v_pk_add_f32 v[94:95], v[202:203], v[94:95]
	v_pk_mul_f32 v[202:203], v[128:129], s[14:15] op_sel_hi:[1,0]
	v_pk_mul_f32 v[210:211], v[134:135], s[20:21] op_sel_hi:[1,0]
	v_pk_fma_f32 v[206:207], v[126:127], s[34:35], v[202:203] op_sel:[0,0,1] op_sel_hi:[1,0,0]
	v_pk_fma_f32 v[202:203], v[126:127], s[34:35], v[202:203] op_sel:[0,0,1] op_sel_hi:[1,0,0] neg_lo:[0,0,1] neg_hi:[0,0,1]
	v_mov_b32_e32 v208, v206
	v_mov_b32_e32 v209, v203
	v_pk_fma_f32 v[212:213], v[130:131], s[8:9], v[210:211] op_sel:[0,0,1] op_sel_hi:[1,0,0]
	v_pk_fma_f32 v[210:211], v[130:131], s[8:9], v[210:211] op_sel:[0,0,1] op_sel_hi:[1,0,0] neg_lo:[0,0,1] neg_hi:[0,0,1]
	v_pk_add_f32 v[208:209], v[64:65], v[208:209]
	v_mov_b32_e32 v214, v212
	v_mov_b32_e32 v215, v211
	v_pk_add_f32 v[208:209], v[214:215], v[208:209]
	v_pk_mul_f32 v[214:215], v[136:137], s[16:17] op_sel_hi:[1,0]
	v_mov_b32_e32 v139, v141
	v_pk_fma_f32 v[222:223], v[132:133], s[2:3], v[214:215] op_sel:[0,0,1] op_sel_hi:[1,0,0]
	v_pk_fma_f32 v[214:215], v[132:133], s[2:3], v[214:215] op_sel:[0,0,1] op_sel_hi:[1,0,0] neg_lo:[0,0,1] neg_hi:[0,0,1]
	v_mov_b32_e32 v224, v222
	v_mov_b32_e32 v225, v215
	v_pk_add_f32 v[208:209], v[224:225], v[208:209]
	v_pk_mul_f32 v[224:225], v[144:145], s[38:39] op_sel_hi:[1,0]
	v_mov_b32_e32 v153, v155
	v_pk_fma_f32 v[226:227], v[142:143], s[36:37], v[224:225] op_sel:[0,0,1] op_sel_hi:[1,0,0]
	v_pk_fma_f32 v[224:225], v[142:143], s[36:37], v[224:225] op_sel:[0,0,1] op_sel_hi:[1,0,0] neg_lo:[0,0,1] neg_hi:[0,0,1]
	;; [unrolled: 7-line block ×4, first 2 shown]
	v_mov_b32_e32 v236, v234
	v_mov_b32_e32 v237, v233
	v_pk_add_f32 v[208:209], v[236:237], v[208:209]
	ds_write2_b64 v103, v[94:95], v[208:209] offset0:4 offset1:5
	v_pk_add_f32 v[94:95], v[64:65], v[138:139]
	v_mov_b32_e32 v91, v93
	v_pk_add_f32 v[94:95], v[152:153], v[94:95]
	v_mov_b32_e32 v211, v213
	v_pk_add_f32 v[94:95], v[174:175], v[94:95]
	v_pk_add_f32 v[90:91], v[64:65], v[90:91]
	;; [unrolled: 1-line block ×3, first 2 shown]
	v_mov_b32_e32 v99, v187
	v_pk_add_f32 v[94:95], v[182:183], v[94:95]
	v_mov_b32_e32 v215, v223
	v_pk_add_f32 v[138:139], v[184:185], v[94:95]
	v_pk_mul_f32 v[94:95], v[128:129], s[18:19] op_sel_hi:[1,0]
	v_pk_add_f32 v[90:91], v[98:99], v[90:91]
	v_pk_fma_f32 v[106:107], v[126:127], s[36:37], v[94:95] op_sel:[0,0,1] op_sel_hi:[1,0,0]
	v_pk_fma_f32 v[94:95], v[126:127], s[36:37], v[94:95] op_sel:[0,0,1] op_sel_hi:[1,0,0] neg_lo:[0,0,1] neg_hi:[0,0,1]
	v_pk_mul_f32 v[126:127], v[134:135], s[24:25] op_sel_hi:[1,0]
	v_mov_b32_e32 v189, v191
	v_pk_fma_f32 v[128:129], v[130:131], s[44:45], v[126:127] op_sel:[0,0,1] op_sel_hi:[1,0,0]
	v_pk_fma_f32 v[126:127], v[130:131], s[44:45], v[126:127] op_sel:[0,0,1] op_sel_hi:[1,0,0] neg_lo:[0,0,1] neg_hi:[0,0,1]
	v_mov_b32_e32 v130, v106
	v_mov_b32_e32 v131, v95
	v_pk_add_f32 v[130:131], v[64:65], v[130:131]
	v_mov_b32_e32 v134, v128
	v_mov_b32_e32 v135, v127
	v_pk_add_f32 v[130:131], v[134:135], v[130:131]
	v_pk_mul_f32 v[134:135], v[136:137], s[14:15] op_sel_hi:[1,0]
	v_mov_b32_e32 v95, v107
	v_pk_fma_f32 v[136:137], v[132:133], s[34:35], v[134:135] op_sel:[0,0,1] op_sel_hi:[1,0,0]
	v_pk_fma_f32 v[132:133], v[132:133], s[34:35], v[134:135] op_sel:[0,0,1] op_sel_hi:[1,0,0] neg_lo:[0,0,1] neg_hi:[0,0,1]
	v_mov_b32_e32 v134, v136
	v_mov_b32_e32 v135, v133
	v_pk_add_f32 v[130:131], v[134:135], v[130:131]
	v_pk_mul_f32 v[134:135], v[144:145], s[28:29] op_sel_hi:[1,0]
	v_mov_b32_e32 v127, v129
	v_pk_add_f32 v[94:95], v[64:65], v[94:95]
	v_pk_fma_f32 v[140:141], v[142:143], s[2:3], v[134:135] op_sel:[0,0,1] op_sel_hi:[1,0,0]
	v_pk_fma_f32 v[134:135], v[142:143], s[2:3], v[134:135] op_sel:[0,0,1] op_sel_hi:[1,0,0] neg_lo:[0,0,1] neg_hi:[0,0,1]
	v_pk_mul_f32 v[142:143], v[156:157], s[10:11] op_sel_hi:[1,0]
	v_pk_add_f32 v[94:95], v[126:127], v[94:95]
	v_mov_b32_e32 v133, v137
	v_pk_fma_f32 v[144:145], v[146:147], s[30:31], v[142:143] op_sel:[0,0,1] op_sel_hi:[1,0,0]
	v_pk_fma_f32 v[142:143], v[146:147], s[30:31], v[142:143] op_sel:[0,0,1] op_sel_hi:[1,0,0] neg_lo:[0,0,1] neg_hi:[0,0,1]
	v_pk_mul_f32 v[146:147], v[164:165], s[20:21] op_sel_hi:[1,0]
	v_mov_b32_e32 v154, v140
	v_mov_b32_e32 v155, v135
	v_pk_add_f32 v[94:95], v[132:133], v[94:95]
	v_mov_b32_e32 v135, v141
	v_pk_fma_f32 v[152:153], v[158:159], s[8:9], v[146:147] op_sel:[0,0,1] op_sel_hi:[1,0,0]
	v_pk_fma_f32 v[146:147], v[158:159], s[8:9], v[146:147] op_sel:[0,0,1] op_sel_hi:[1,0,0] neg_lo:[0,0,1] neg_hi:[0,0,1]
	v_pk_add_f32 v[130:131], v[154:155], v[130:131]
	v_mov_b32_e32 v154, v144
	v_mov_b32_e32 v155, v143
	;; [unrolled: 1-line block ×3, first 2 shown]
	v_pk_add_f32 v[94:95], v[134:135], v[94:95]
	v_pk_add_f32 v[130:131], v[154:155], v[130:131]
	v_mov_b32_e32 v154, v152
	v_mov_b32_e32 v155, v147
	;; [unrolled: 1-line block ×3, first 2 shown]
	v_pk_add_f32 v[94:95], v[142:143], v[94:95]
	v_pk_add_f32 v[130:131], v[154:155], v[130:131]
	v_pk_add_f32 v[94:95], v[146:147], v[94:95]
	ds_write2_b64 v103, v[130:131], v[94:95] offset0:6 offset1:7
	v_pk_add_f32 v[94:95], v[64:65], v[202:203]
	v_mov_b32_e32 v225, v227
	v_pk_add_f32 v[94:95], v[210:211], v[94:95]
	v_pk_add_f32 v[90:91], v[188:189], v[90:91]
	v_pk_add_f32 v[94:95], v[214:215], v[94:95]
	v_mov_b32_e32 v193, v195
	v_mov_b32_e32 v229, v231
	v_pk_add_f32 v[94:95], v[224:225], v[94:95]
	v_mov_b32_e32 v199, v201
	v_pk_add_f32 v[90:91], v[192:193], v[90:91]
	;; [unrolled: 2-line block ×4, first 2 shown]
	v_pk_add_f32 v[94:95], v[232:233], v[94:95]
	v_pk_add_f32 v[90:91], v[204:205], v[90:91]
	v_mov_b32_e32 v151, v149
	v_mov_b32_e32 v81, v79
	ds_write2_b64 v103, v[94:95], v[90:91] offset0:8 offset1:9
	v_pk_add_f32 v[90:91], v[64:65], v[150:151]
	v_mov_b32_e32 v163, v161
	v_pk_add_f32 v[64:65], v[64:65], v[80:81]
	v_mov_b32_e32 v85, v83
	;; [unrolled: 2-line block ×5, first 2 shown]
	v_mov_b32_e32 v67, v71
	v_pk_add_f32 v[64:65], v[124:125], v[64:65]
	v_mov_b32_e32 v179, v181
	v_pk_add_f32 v[90:91], v[166:167], v[90:91]
	;; [unrolled: 2-line block ×5, first 2 shown]
	v_pk_add_f32 v[90:91], v[100:101], v[90:91]
	v_pk_add_f32 v[64:65], v[74:75], v[64:65]
	ds_write2_b64 v103, v[90:91], v[64:65] offset0:10 offset1:11
	ds_write_b64 v103, v[138:139] offset:96
	s_waitcnt lgkmcnt(0)
	s_barrier
	ds_read2_b64 v[76:79], v88 offset1:117
	ds_read2_b64 v[84:87], v217 offset0:123 offset1:240
	ds_read2_b64 v[80:83], v220 offset0:118 offset1:235
	;; [unrolled: 1-line block ×5, first 2 shown]
	s_and_saveexec_b64 s[2:3], s[0:1]
	s_xor_b64 s[2:3], exec, s[2:3]
	s_or_saveexec_b64 s[2:3], s[2:3]
	v_mov_b32_e32 v142, v8
	v_mov_b32_e32 v143, v8
	;; [unrolled: 1-line block ×24, first 2 shown]
	s_xor_b64 exec, exec, s[2:3]
	s_cbranch_execz .LBB0_11
; %bb.10:
	ds_read_b64 v[90:91], v88 offset:7800
	ds_read_b64 v[120:121], v88 offset:11856
	;; [unrolled: 1-line block ×3, first 2 shown]
	s_waitcnt lgkmcnt(2)
	v_mov_b32_e32 v122, v90
	s_waitcnt lgkmcnt(1)
	v_mov_b32_e32 v123, v121
	v_mov_b32_e32 v121, v91
.LBB0_11:
	s_or_b64 exec, exec, s[2:3]
	v_pk_mul_f32 v[90:91], v[4:5], v[120:121] op_sel:[0,1]
	v_pk_mul_f32 v[92:93], v[6:7], v[122:123] op_sel:[0,1]
	v_pk_fma_f32 v[94:95], v[4:5], v[122:123], v[90:91] op_sel:[0,0,1] op_sel_hi:[1,1,0]
	v_pk_fma_f32 v[4:5], v[4:5], v[122:123], v[90:91] op_sel:[0,0,1] op_sel_hi:[1,0,0] neg_lo:[1,0,0] neg_hi:[1,0,0]
	s_mov_b32 s2, 0x3f5db3d7
	v_mov_b32_e32 v95, v5
	v_pk_fma_f32 v[4:5], v[6:7], v[120:121], v[92:93] op_sel:[0,0,1] op_sel_hi:[1,1,0]
	v_pk_fma_f32 v[6:7], v[6:7], v[120:121], v[92:93] op_sel:[0,0,1] op_sel_hi:[1,0,0] neg_lo:[1,0,0] neg_hi:[1,0,0]
	s_waitcnt lgkmcnt(4)
	v_pk_mul_f32 v[8:9], v[8:9], v[84:85]
	v_mov_b32_e32 v5, v7
	s_waitcnt lgkmcnt(0)
	v_pk_add_f32 v[6:7], v[138:139], v[94:95]
	v_pk_mul_f32 v[10:11], v[10:11], v[80:81]
	v_pk_add_f32 v[120:121], v[6:7], v[4:5]
	v_pk_add_f32 v[6:7], v[94:95], v[4:5]
	v_pk_add_f32 v[4:5], v[94:95], v[4:5] neg_lo:[0,1] neg_hi:[0,1]
	v_pk_fma_f32 v[6:7], v[6:7], 0.5, v[138:139] op_sel_hi:[1,0,1] neg_lo:[1,0,0] neg_hi:[1,0,0]
	v_pk_mul_f32 v[4:5], v[4:5], s[2:3] op_sel_hi:[1,0]
	v_pk_mul_f32 v[12:13], v[12:13], v[86:87]
	v_pk_add_f32 v[122:123], v[4:5], v[6:7] op_sel:[1,0] op_sel_hi:[0,1]
	v_pk_add_f32 v[124:125], v[6:7], v[4:5] op_sel:[0,1] op_sel_hi:[1,0] neg_lo:[0,1] neg_hi:[0,1]
	v_pk_fma_f32 v[4:5], v[142:143], v[84:85], v[8:9] op_sel:[0,0,1] op_sel_hi:[1,1,0]
	v_pk_fma_f32 v[6:7], v[142:143], v[84:85], v[8:9] op_sel:[0,0,1] op_sel_hi:[1,1,0] neg_lo:[0,0,1] neg_hi:[0,0,1]
	v_pk_fma_f32 v[8:9], v[140:141], v[80:81], v[10:11] op_sel:[0,0,1] op_sel_hi:[1,1,0] neg_lo:[0,0,1] neg_hi:[0,0,1]
	v_mov_b32_e32 v5, v7
	v_pk_fma_f32 v[6:7], v[140:141], v[80:81], v[10:11] op_sel:[0,0,1] op_sel_hi:[1,1,0]
	v_pk_mul_f32 v[14:15], v[14:15], v[82:83]
	v_mov_b32_e32 v7, v9
	v_pk_add_f32 v[8:9], v[76:77], v[4:5]
	v_pk_add_f32 v[10:11], v[4:5], v[6:7]
	v_pk_add_f32 v[4:5], v[4:5], v[6:7] neg_lo:[0,1] neg_hi:[0,1]
	v_pk_fma_f32 v[10:11], v[10:11], 0.5, v[76:77] op_sel_hi:[1,0,1] neg_lo:[1,0,0] neg_hi:[1,0,0]
	v_pk_mul_f32 v[4:5], v[4:5], s[2:3] op_sel_hi:[1,0]
	v_pk_add_f32 v[8:9], v[8:9], v[6:7]
	v_pk_add_f32 v[6:7], v[10:11], v[4:5] op_sel:[0,1] op_sel_hi:[1,0] neg_lo:[0,1] neg_hi:[0,1]
	v_pk_add_f32 v[4:5], v[10:11], v[4:5] op_sel:[0,1] op_sel_hi:[1,0]
	v_mov_b32_e32 v10, v6
	v_mov_b32_e32 v11, v5
	v_accvgpr_read_b32 v6, a17
	v_mov_b32_e32 v5, v7
	s_barrier
	ds_write2_b64 v6, v[8:9], v[10:11] offset1:13
	ds_write_b64 v6, v[4:5] offset:208
	v_pk_fma_f32 v[4:5], v[136:137], v[86:87], v[12:13] op_sel:[0,0,1] op_sel_hi:[1,1,0]
	v_pk_fma_f32 v[6:7], v[136:137], v[86:87], v[12:13] op_sel:[0,0,1] op_sel_hi:[1,1,0] neg_lo:[0,0,1] neg_hi:[0,0,1]
	v_pk_fma_f32 v[8:9], v[134:135], v[82:83], v[14:15] op_sel:[0,0,1] op_sel_hi:[1,1,0] neg_lo:[0,0,1] neg_hi:[0,0,1]
	v_mov_b32_e32 v5, v7
	v_pk_fma_f32 v[6:7], v[134:135], v[82:83], v[14:15] op_sel:[0,0,1] op_sel_hi:[1,1,0]
	v_pk_mul_f32 v[16:17], v[16:17], v[72:73]
	v_mov_b32_e32 v7, v9
	v_pk_add_f32 v[8:9], v[78:79], v[4:5]
	v_pk_add_f32 v[10:11], v[4:5], v[6:7]
	v_pk_add_f32 v[4:5], v[4:5], v[6:7] neg_lo:[0,1] neg_hi:[0,1]
	v_pk_fma_f32 v[10:11], v[10:11], 0.5, v[78:79] op_sel_hi:[1,0,1] neg_lo:[1,0,0] neg_hi:[1,0,0]
	v_pk_mul_f32 v[4:5], v[4:5], s[2:3] op_sel_hi:[1,0]
	v_pk_add_f32 v[8:9], v[8:9], v[6:7]
	v_pk_add_f32 v[6:7], v[10:11], v[4:5] op_sel:[0,1] op_sel_hi:[1,0] neg_lo:[0,1] neg_hi:[0,1]
	v_pk_add_f32 v[4:5], v[10:11], v[4:5] op_sel:[0,1] op_sel_hi:[1,0]
	v_mov_b32_e32 v10, v6
	v_mov_b32_e32 v11, v5
	v_accvgpr_read_b32 v6, a16
	v_mov_b32_e32 v5, v7
	v_pk_mul_f32 v[18:19], v[18:19], v[68:69]
	ds_write2_b64 v6, v[8:9], v[10:11] offset1:13
	ds_write_b64 v6, v[4:5] offset:208
	v_pk_fma_f32 v[4:5], v[132:133], v[72:73], v[16:17] op_sel:[0,0,1] op_sel_hi:[1,1,0]
	v_pk_fma_f32 v[6:7], v[132:133], v[72:73], v[16:17] op_sel:[0,0,1] op_sel_hi:[1,1,0] neg_lo:[0,0,1] neg_hi:[0,0,1]
	v_pk_fma_f32 v[8:9], v[130:131], v[68:69], v[18:19] op_sel:[0,0,1] op_sel_hi:[1,1,0] neg_lo:[0,0,1] neg_hi:[0,0,1]
	v_mov_b32_e32 v5, v7
	v_pk_fma_f32 v[6:7], v[130:131], v[68:69], v[18:19] op_sel:[0,0,1] op_sel_hi:[1,1,0]
	v_pk_mul_f32 v[20:21], v[20:21], v[74:75]
	v_mov_b32_e32 v7, v9
	v_pk_add_f32 v[8:9], v[4:5], v[6:7]
	v_pk_add_f32 v[10:11], v[4:5], v[6:7] neg_lo:[0,1] neg_hi:[0,1]
	v_pk_fma_f32 v[8:9], v[8:9], 0.5, v[64:65] op_sel_hi:[1,0,1] neg_lo:[1,0,0] neg_hi:[1,0,0]
	v_pk_mul_f32 v[10:11], v[10:11], s[2:3] op_sel_hi:[1,0]
	v_pk_add_f32 v[4:5], v[64:65], v[4:5]
	v_pk_add_f32 v[12:13], v[8:9], v[10:11] op_sel:[0,1] op_sel_hi:[1,0]
	v_pk_add_f32 v[8:9], v[8:9], v[10:11] op_sel:[0,1] op_sel_hi:[1,0] neg_lo:[0,1] neg_hi:[0,1]
	v_pk_add_f32 v[4:5], v[4:5], v[6:7]
	v_mov_b32_e32 v6, v8
	v_mov_b32_e32 v7, v13
	v_accvgpr_read_b32 v8, a18
	v_pk_mul_f32 v[22:23], v[22:23], v[70:71]
	ds_write2_b64 v8, v[4:5], v[6:7] offset1:13
	v_mov_b32_e32 v13, v9
	v_pk_fma_f32 v[4:5], v[128:129], v[74:75], v[20:21] op_sel:[0,0,1] op_sel_hi:[1,1,0]
	v_pk_fma_f32 v[6:7], v[128:129], v[74:75], v[20:21] op_sel:[0,0,1] op_sel_hi:[1,1,0] neg_lo:[0,0,1] neg_hi:[0,0,1]
	ds_write_b64 v8, v[12:13] offset:208
	v_mov_b32_e32 v5, v7
	v_pk_fma_f32 v[6:7], v[126:127], v[70:71], v[22:23] op_sel:[0,0,1] op_sel_hi:[1,1,0]
	v_pk_fma_f32 v[8:9], v[126:127], v[70:71], v[22:23] op_sel:[0,0,1] op_sel_hi:[1,1,0] neg_lo:[0,0,1] neg_hi:[0,0,1]
	s_nop 0
	v_mov_b32_e32 v7, v9
	v_pk_add_f32 v[8:9], v[4:5], v[6:7]
	v_pk_add_f32 v[10:11], v[4:5], v[6:7] neg_lo:[0,1] neg_hi:[0,1]
	v_pk_fma_f32 v[8:9], v[8:9], 0.5, v[66:67] op_sel_hi:[1,0,1] neg_lo:[1,0,0] neg_hi:[1,0,0]
	v_pk_mul_f32 v[10:11], v[10:11], s[2:3] op_sel_hi:[1,0]
	v_pk_add_f32 v[4:5], v[66:67], v[4:5]
	v_pk_add_f32 v[12:13], v[8:9], v[10:11] op_sel:[0,1] op_sel_hi:[1,0]
	v_pk_add_f32 v[8:9], v[8:9], v[10:11] op_sel:[0,1] op_sel_hi:[1,0] neg_lo:[0,1] neg_hi:[0,1]
	v_pk_add_f32 v[4:5], v[4:5], v[6:7]
	v_mov_b32_e32 v6, v8
	v_mov_b32_e32 v7, v13
	v_accvgpr_read_b32 v8, a19
	v_mov_b32_e32 v13, v9
	ds_write2_b64 v8, v[4:5], v[6:7] offset1:13
	ds_write_b64 v8, v[12:13] offset:208
	s_and_saveexec_b64 s[2:3], vcc
	s_cbranch_execz .LBB0_13
; %bb.12:
	v_accvgpr_read_b32 v4, a14
	v_accvgpr_read_b32 v5, a15
	v_mad_legacy_u16 v4, v4, 39, v5
	v_lshlrev_b32_e32 v6, 3, v4
	v_mov_b32_e32 v4, v124
	v_mov_b32_e32 v5, v123
	ds_write2_b64 v6, v[120:121], v[4:5] offset1:13
	v_mov_b32_e32 v4, v122
	v_mov_b32_e32 v5, v125
	ds_write_b64 v6, v[4:5] offset:208
.LBB0_13:
	s_or_b64 exec, exec, s[2:3]
	v_add_u32_e32 v4, 0xc00, v88
	s_waitcnt lgkmcnt(0)
	s_barrier
	ds_read2_b64 v[64:67], v4 offset0:123 offset1:240
	v_add_u32_e32 v4, 0x1c00, v88
	v_add_u32_e32 v8, 0x1400, v88
	ds_read2_b64 v[20:23], v4 offset0:118 offset1:235
	v_add_u32_e32 v4, 0x400, v88
	ds_read2_b64 v[12:15], v8 offset0:101 offset1:218
	v_add_u32_e32 v8, 0x2400, v88
	ds_read2_b64 v[16:19], v88 offset1:117
	ds_read2_b64 v[4:7], v4 offset0:106 offset1:223
	ds_read2_b64 v[8:11], v8 offset0:96 offset1:213
	s_and_saveexec_b64 s[2:3], s[0:1]
	s_xor_b64 s[0:1], exec, s[2:3]
	s_or_saveexec_b64 s[0:1], s[0:1]
	v_mov_b32_e32 v138, v24
	v_mov_b32_e32 v139, v24
	;; [unrolled: 1-line block ×24, first 2 shown]
	s_xor_b64 exec, exec, s[0:1]
	s_cbranch_execz .LBB0_15
; %bb.14:
	ds_read_b64 v[68:69], v88 offset:11856
	ds_read_b64 v[124:125], v88 offset:7800
	;; [unrolled: 1-line block ×3, first 2 shown]
	s_waitcnt lgkmcnt(2)
	v_mov_b32_e32 v122, v68
	s_waitcnt lgkmcnt(1)
	v_mov_b32_e32 v123, v125
	v_mov_b32_e32 v125, v69
.LBB0_15:
	s_or_b64 exec, exec, s[0:1]
	s_waitcnt lgkmcnt(5)
	v_pk_mul_f32 v[24:25], v[24:25], v[64:65]
	s_waitcnt lgkmcnt(4)
	v_pk_mul_f32 v[26:27], v[26:27], v[20:21]
	v_pk_fma_f32 v[90:91], v[138:139], v[64:65], v[24:25] op_sel:[0,0,1] op_sel_hi:[1,1,0]
	v_pk_fma_f32 v[24:25], v[138:139], v[64:65], v[24:25] op_sel:[0,0,1] op_sel_hi:[1,1,0] neg_lo:[0,0,1] neg_hi:[0,0,1]
	s_mov_b32 s0, 0x3f5db3d7
	v_mov_b32_e32 v91, v25
	v_pk_fma_f32 v[24:25], v[136:137], v[20:21], v[26:27] op_sel:[0,0,1] op_sel_hi:[1,1,0]
	v_pk_fma_f32 v[20:21], v[136:137], v[20:21], v[26:27] op_sel:[0,0,1] op_sel_hi:[1,1,0] neg_lo:[0,0,1] neg_hi:[0,0,1]
	v_pk_mul_f32 v[32:33], v[32:33], v[66:67]
	v_mov_b32_e32 v25, v21
	s_waitcnt lgkmcnt(2)
	v_pk_add_f32 v[20:21], v[16:17], v[90:91]
	v_pk_add_f32 v[26:27], v[90:91], v[24:25]
	;; [unrolled: 1-line block ×3, first 2 shown]
	v_pk_add_f32 v[24:25], v[90:91], v[24:25] neg_lo:[0,1] neg_hi:[0,1]
	v_pk_fma_f32 v[16:17], v[26:27], 0.5, v[16:17] op_sel_hi:[1,0,1] neg_lo:[1,0,0] neg_hi:[1,0,0]
	v_pk_mul_f32 v[24:25], v[24:25], s[0:1] op_sel_hi:[1,0]
	v_pk_mul_f32 v[34:35], v[34:35], v[22:23]
	v_pk_add_f32 v[26:27], v[16:17], v[24:25] op_sel:[0,1] op_sel_hi:[1,0] neg_lo:[0,1] neg_hi:[0,1]
	v_pk_add_f32 v[16:17], v[16:17], v[24:25] op_sel:[0,1] op_sel_hi:[1,0]
	v_mov_b32_e32 v24, v26
	v_mov_b32_e32 v25, v17
	v_accvgpr_read_b32 v26, a20
	v_mov_b32_e32 v17, v27
	s_waitcnt lgkmcnt(0)
	s_barrier
	ds_write2_b64 v26, v[20:21], v[24:25] offset1:39
	ds_write_b64 v26, v[16:17] offset:624
	v_pk_fma_f32 v[16:17], v[134:135], v[66:67], v[32:33] op_sel:[0,0,1] op_sel_hi:[1,1,0]
	v_pk_fma_f32 v[20:21], v[134:135], v[66:67], v[32:33] op_sel:[0,0,1] op_sel_hi:[1,1,0] neg_lo:[0,0,1] neg_hi:[0,0,1]
	v_pk_mul_f32 v[28:29], v[28:29], v[12:13]
	v_mov_b32_e32 v17, v21
	v_pk_fma_f32 v[20:21], v[132:133], v[22:23], v[34:35] op_sel:[0,0,1] op_sel_hi:[1,1,0]
	v_pk_fma_f32 v[22:23], v[132:133], v[22:23], v[34:35] op_sel:[0,0,1] op_sel_hi:[1,1,0] neg_lo:[0,0,1] neg_hi:[0,0,1]
	v_pk_mul_f32 v[30:31], v[30:31], v[8:9]
	v_mov_b32_e32 v21, v23
	v_pk_add_f32 v[22:23], v[18:19], v[16:17]
	v_pk_add_f32 v[24:25], v[16:17], v[20:21]
	v_pk_add_f32 v[16:17], v[16:17], v[20:21] neg_lo:[0,1] neg_hi:[0,1]
	v_pk_fma_f32 v[18:19], v[24:25], 0.5, v[18:19] op_sel_hi:[1,0,1] neg_lo:[1,0,0] neg_hi:[1,0,0]
	v_pk_mul_f32 v[16:17], v[16:17], s[0:1] op_sel_hi:[1,0]
	v_pk_add_f32 v[22:23], v[22:23], v[20:21]
	v_pk_add_f32 v[20:21], v[18:19], v[16:17] op_sel:[0,1] op_sel_hi:[1,0] neg_lo:[0,1] neg_hi:[0,1]
	v_pk_add_f32 v[16:17], v[18:19], v[16:17] op_sel:[0,1] op_sel_hi:[1,0]
	v_mov_b32_e32 v18, v20
	v_mov_b32_e32 v19, v17
	;; [unrolled: 1-line block ×3, first 2 shown]
	ds_write_b64 v221, v[16:17] offset:624
	v_pk_fma_f32 v[16:17], v[130:131], v[12:13], v[28:29] op_sel:[0,0,1] op_sel_hi:[1,1,0]
	v_pk_fma_f32 v[12:13], v[130:131], v[12:13], v[28:29] op_sel:[0,0,1] op_sel_hi:[1,1,0] neg_lo:[0,0,1] neg_hi:[0,0,1]
	ds_write2_b64 v221, v[22:23], v[18:19] offset1:39
	v_mov_b32_e32 v17, v13
	v_pk_fma_f32 v[12:13], v[128:129], v[8:9], v[30:31] op_sel:[0,0,1] op_sel_hi:[1,1,0]
	v_pk_fma_f32 v[8:9], v[128:129], v[8:9], v[30:31] op_sel:[0,0,1] op_sel_hi:[1,1,0] neg_lo:[0,0,1] neg_hi:[0,0,1]
	v_pk_mul_f32 v[44:45], v[44:45], v[14:15]
	v_mov_b32_e32 v13, v9
	v_pk_add_f32 v[8:9], v[16:17], v[12:13]
	v_pk_add_f32 v[18:19], v[16:17], v[12:13] neg_lo:[0,1] neg_hi:[0,1]
	v_pk_fma_f32 v[8:9], v[8:9], 0.5, v[4:5] op_sel_hi:[1,0,1] neg_lo:[1,0,0] neg_hi:[1,0,0]
	v_pk_mul_f32 v[18:19], v[18:19], s[0:1] op_sel_hi:[1,0]
	v_pk_add_f32 v[4:5], v[4:5], v[16:17]
	v_pk_add_f32 v[20:21], v[8:9], v[18:19] op_sel:[0,1] op_sel_hi:[1,0]
	v_pk_add_f32 v[8:9], v[8:9], v[18:19] op_sel:[0,1] op_sel_hi:[1,0] neg_lo:[0,1] neg_hi:[0,1]
	v_pk_add_f32 v[4:5], v[4:5], v[12:13]
	v_mov_b32_e32 v12, v8
	v_mov_b32_e32 v13, v21
	v_accvgpr_read_b32 v8, a21
	v_mov_b32_e32 v21, v9
	v_pk_mul_f32 v[46:47], v[46:47], v[10:11]
	ds_write2_b64 v8, v[4:5], v[12:13] offset1:39
	ds_write_b64 v8, v[20:21] offset:624
	v_pk_fma_f32 v[4:5], v[126:127], v[14:15], v[44:45] op_sel:[0,0,1] op_sel_hi:[1,1,0]
	v_pk_fma_f32 v[8:9], v[126:127], v[14:15], v[44:45] op_sel:[0,0,1] op_sel_hi:[1,1,0] neg_lo:[0,0,1] neg_hi:[0,0,1]
	v_mov_b32_e32 v84, v38
	v_mov_b32_e32 v5, v9
	v_pk_fma_f32 v[8:9], v[86:87], v[10:11], v[46:47] op_sel:[0,0,1] op_sel_hi:[1,1,0]
	v_pk_fma_f32 v[10:11], v[86:87], v[10:11], v[46:47] op_sel:[0,0,1] op_sel_hi:[1,1,0] neg_lo:[0,0,1] neg_hi:[0,0,1]
	v_mov_b32_e32 v85, v38
	v_mov_b32_e32 v9, v11
	v_pk_add_f32 v[10:11], v[4:5], v[8:9]
	v_pk_add_f32 v[12:13], v[4:5], v[8:9] neg_lo:[0,1] neg_hi:[0,1]
	v_pk_fma_f32 v[10:11], v[10:11], 0.5, v[6:7] op_sel_hi:[1,0,1] neg_lo:[1,0,0] neg_hi:[1,0,0]
	v_pk_mul_f32 v[12:13], v[12:13], s[0:1] op_sel_hi:[1,0]
	v_pk_add_f32 v[4:5], v[6:7], v[4:5]
	v_pk_add_f32 v[14:15], v[10:11], v[12:13] op_sel:[0,1] op_sel_hi:[1,0]
	v_pk_add_f32 v[10:11], v[10:11], v[12:13] op_sel:[0,1] op_sel_hi:[1,0] neg_lo:[0,1] neg_hi:[0,1]
	v_mov_b32_e32 v38, v39
	v_mov_b32_e32 v82, v52
	;; [unrolled: 1-line block ×25, first 2 shown]
	v_pk_add_f32 v[4:5], v[4:5], v[8:9]
	v_mov_b32_e32 v6, v10
	v_mov_b32_e32 v7, v15
	;; [unrolled: 1-line block ×3, first 2 shown]
	ds_write2_b64 v97, v[4:5], v[6:7] offset1:39
	ds_write_b64 v97, v[14:15] offset:624
	s_and_saveexec_b64 s[2:3], vcc
	s_cbranch_execz .LBB0_17
; %bb.16:
	v_pk_mul_f32 v[4:5], v[0:1], v[122:123] op_sel:[0,1]
	v_pk_mul_f32 v[6:7], v[2:3], v[124:125] op_sel:[0,1]
	v_pk_fma_f32 v[8:9], v[0:1], v[124:125], v[4:5] op_sel:[0,0,1] op_sel_hi:[1,1,0]
	v_pk_fma_f32 v[0:1], v[0:1], v[124:125], v[4:5] op_sel:[0,0,1] op_sel_hi:[1,0,0] neg_lo:[1,0,0] neg_hi:[1,0,0]
	s_nop 0
	v_mov_b32_e32 v9, v1
	v_pk_fma_f32 v[0:1], v[2:3], v[122:123], v[6:7] op_sel:[0,0,1] op_sel_hi:[1,1,0]
	v_pk_fma_f32 v[2:3], v[2:3], v[122:123], v[6:7] op_sel:[0,0,1] op_sel_hi:[1,0,0] neg_lo:[1,0,0] neg_hi:[1,0,0]
	s_nop 0
	v_mov_b32_e32 v1, v3
	v_pk_add_f32 v[2:3], v[8:9], v[0:1]
	v_pk_add_f32 v[4:5], v[8:9], v[0:1] neg_lo:[0,1] neg_hi:[0,1]
	v_pk_fma_f32 v[2:3], -0.5, v[2:3], v[120:121] op_sel_hi:[0,1,1]
	v_pk_mul_f32 v[4:5], v[4:5], s[0:1] op_sel_hi:[1,0]
	s_nop 0
	v_pk_add_f32 v[6:7], v[2:3], v[4:5] op_sel:[0,1] op_sel_hi:[1,0]
	v_pk_add_f32 v[2:3], v[2:3], v[4:5] op_sel:[0,1] op_sel_hi:[1,0] neg_lo:[0,1] neg_hi:[0,1]
	v_pk_add_f32 v[4:5], v[120:121], v[8:9]
	v_accvgpr_read_b32 v8, a22
	v_pk_add_f32 v[0:1], v[4:5], v[0:1]
	v_mov_b32_e32 v4, v2
	v_mov_b32_e32 v5, v7
	v_add_u32_e32 v2, 0x2800, v8
	v_mov_b32_e32 v7, v3
	ds_write2_b64 v2, v[0:1], v[4:5] offset0:124 offset1:163
	ds_write_b64 v8, v[6:7] offset:11856
.LBB0_17:
	s_or_b64 exec, exec, s[2:3]
	v_add_u32_e32 v65, 0xc00, v88
	s_waitcnt lgkmcnt(0)
	s_barrier
	ds_read2_b64 v[8:11], v65 offset0:84 offset1:201
	v_add_u32_e32 v64, 0x1400, v88
	ds_read2_b64 v[12:15], v64 offset0:62 offset1:179
	v_add_u32_e32 v47, 0x1c00, v88
	ds_read2_b64 v[16:19], v47 offset0:40 offset1:157
	s_waitcnt lgkmcnt(2)
	v_pk_mul_f32 v[26:27], v[38:39], v[8:9]
	v_add_u32_e32 v46, 0x2400, v88
	v_pk_fma_f32 v[28:29], v[84:85], v[8:9], v[26:27] op_sel:[0,0,1] op_sel_hi:[1,1,0]
	v_pk_fma_f32 v[8:9], v[84:85], v[8:9], v[26:27] op_sel:[0,0,1] op_sel_hi:[1,1,0] neg_lo:[0,0,1] neg_hi:[0,0,1]
	ds_read2_b64 v[0:3], v88 offset1:117
	v_mov_b32_e32 v29, v9
	v_pk_mul_f32 v[8:9], v[52:53], v[10:11]
	ds_read2_b64 v[20:23], v46 offset0:18 offset1:135
	ds_read_b64 v[24:25], v88 offset:11232
	v_pk_fma_f32 v[26:27], v[82:83], v[10:11], v[8:9] op_sel:[0,0,1] op_sel_hi:[1,1,0]
	v_pk_fma_f32 v[8:9], v[82:83], v[10:11], v[8:9] op_sel:[0,0,1] op_sel_hi:[1,1,0] neg_lo:[0,0,1] neg_hi:[0,0,1]
	v_add_u32_e32 v89, 0x400, v88
	v_mov_b32_e32 v27, v9
	s_waitcnt lgkmcnt(4)
	v_pk_mul_f32 v[8:9], v[54:55], v[12:13]
	v_mad_u64_u32 v[6:7], s[0:1], s6, v102, 0
	v_pk_fma_f32 v[30:31], v[80:81], v[12:13], v[8:9] op_sel:[0,0,1] op_sel_hi:[1,1,0]
	v_pk_fma_f32 v[8:9], v[80:81], v[12:13], v[8:9] op_sel:[0,0,1] op_sel_hi:[1,1,0] neg_lo:[0,0,1] neg_hi:[0,0,1]
	s_mov_b32 s2, 0xbeedf032
	v_mov_b32_e32 v31, v9
	v_pk_mul_f32 v[8:9], v[48:49], v[14:15]
	s_mov_b32 s0, 0x3f62ad3f
	v_pk_fma_f32 v[32:33], v[78:79], v[14:15], v[8:9] op_sel:[0,0,1] op_sel_hi:[1,1,0]
	v_pk_fma_f32 v[8:9], v[78:79], v[14:15], v[8:9] op_sel:[0,0,1] op_sel_hi:[1,1,0] neg_lo:[0,0,1] neg_hi:[0,0,1]
	s_mov_b32 s16, 0xbf52af12
	v_mov_b32_e32 v33, v9
	s_waitcnt lgkmcnt(3)
	v_pk_mul_f32 v[8:9], v[50:51], v[16:17]
	s_mov_b32 s24, 0xbf7e222b
	v_pk_fma_f32 v[34:35], v[76:77], v[16:17], v[8:9] op_sel:[0,0,1] op_sel_hi:[1,1,0]
	v_pk_fma_f32 v[8:9], v[76:77], v[16:17], v[8:9] op_sel:[0,0,1] op_sel_hi:[1,1,0] neg_lo:[0,0,1] neg_hi:[0,0,1]
	s_mov_b32 s6, 0x3df6dbef
	v_mov_b32_e32 v35, v9
	v_pk_mul_f32 v[8:9], v[60:61], v[18:19]
	s_mov_b32 s10, 0xbf6f5d39
	v_pk_fma_f32 v[38:39], v[74:75], v[18:19], v[8:9] op_sel:[0,0,1] op_sel_hi:[1,1,0]
	v_pk_fma_f32 v[8:9], v[74:75], v[18:19], v[8:9] op_sel:[0,0,1] op_sel_hi:[1,1,0] neg_lo:[0,0,1] neg_hi:[0,0,1]
	s_waitcnt lgkmcnt(2)
	v_pk_mul_f32 v[18:19], v[40:41], v[2:3] op_sel:[1,0]
	v_mov_b32_e32 v39, v9
	s_waitcnt lgkmcnt(1)
	v_pk_mul_f32 v[8:9], v[62:63], v[20:21]
	v_pk_add_f32 v[62:63], v[28:29], v[38:39] neg_lo:[0,1] neg_hi:[0,1]
	v_pk_fma_f32 v[14:15], v[72:73], v[20:21], v[8:9] op_sel:[0,0,1] op_sel_hi:[1,1,0]
	v_pk_fma_f32 v[8:9], v[72:73], v[20:21], v[8:9] op_sel:[0,0,1] op_sel_hi:[1,1,0] neg_lo:[0,0,1] neg_hi:[0,0,1]
	v_pk_fma_f32 v[20:21], v[40:41], v[2:3], v[18:19] op_sel:[0,0,1] op_sel_hi:[1,1,0]
	v_mov_b32_e32 v15, v9
	v_pk_mul_f32 v[8:9], v[56:57], v[22:23]
	v_pk_fma_f32 v[2:3], v[40:41], v[2:3], v[18:19] op_sel:[0,0,1] op_sel_hi:[0,1,0] neg_lo:[0,0,1] neg_hi:[0,0,1]
	v_pk_fma_f32 v[12:13], v[70:71], v[22:23], v[8:9] op_sel:[0,0,1] op_sel_hi:[1,1,0]
	v_pk_fma_f32 v[8:9], v[70:71], v[22:23], v[8:9] op_sel:[0,0,1] op_sel_hi:[1,1,0] neg_lo:[0,0,1] neg_hi:[0,0,1]
	v_mov_b32_e32 v21, v3
	v_mov_b32_e32 v13, v9
	s_waitcnt lgkmcnt(0)
	v_pk_mul_f32 v[8:9], v[58:59], v[24:25]
	v_pk_add_f32 v[60:61], v[28:29], v[38:39]
	v_pk_fma_f32 v[16:17], v[68:69], v[24:25], v[8:9] op_sel:[0,0,1] op_sel_hi:[1,1,0]
	v_pk_fma_f32 v[8:9], v[68:69], v[24:25], v[8:9] op_sel:[0,0,1] op_sel_hi:[1,1,0] neg_lo:[0,0,1] neg_hi:[0,0,1]
	s_mov_b32 s8, 0xbeb58ec6
	v_mov_b32_e32 v17, v9
	ds_read2_b64 v[8:11], v89 offset0:106 offset1:223
	v_pk_add_f32 v[50:51], v[20:21], v[16:17] neg_lo:[0,1] neg_hi:[0,1]
	v_pk_add_f32 v[48:49], v[20:21], v[16:17]
	v_pk_add_f32 v[68:69], v[26:27], v[34:35] neg_lo:[0,1] neg_hi:[0,1]
	s_mov_b32 s14, 0xbf29c268
	s_waitcnt lgkmcnt(0)
	v_pk_mul_f32 v[2:3], v[42:43], v[8:9] op_sel:[1,0]
	v_mov_b32_e32 v4, s12
	v_pk_fma_f32 v[18:19], v[42:43], v[8:9], v[2:3] op_sel:[0,0,1] op_sel_hi:[1,1,0]
	v_pk_fma_f32 v[2:3], v[42:43], v[8:9], v[2:3] op_sel:[0,0,1] op_sel_hi:[0,1,0] neg_lo:[0,0,1] neg_hi:[0,0,1]
	v_mov_b32_e32 v19, v3
	v_pk_mul_f32 v[2:3], v[36:37], v[10:11] op_sel:[1,0]
	v_pk_mul_f32 v[8:9], v[50:51], s[2:3] op_sel_hi:[1,0]
	v_pk_fma_f32 v[22:23], v[36:37], v[10:11], v[2:3] op_sel:[0,0,1] op_sel_hi:[1,1,0]
	v_pk_fma_f32 v[2:3], v[36:37], v[10:11], v[2:3] op_sel:[0,0,1] op_sel_hi:[0,1,0] neg_lo:[0,0,1] neg_hi:[0,0,1]
	v_mov_b32_e32 v23, v3
	v_pk_add_f32 v[2:3], v[0:1], v[20:21]
	v_pk_add_f32 v[54:55], v[18:19], v[12:13] neg_lo:[0,1] neg_hi:[0,1]
	v_pk_add_f32 v[2:3], v[2:3], v[18:19]
	v_pk_add_f32 v[52:53], v[18:19], v[12:13]
	;; [unrolled: 1-line block ×3, first 2 shown]
	s_mov_b32 s2, 0x3f116cb1
	v_pk_add_f32 v[2:3], v[2:3], v[28:29]
	v_pk_add_f32 v[58:59], v[22:23], v[14:15] neg_lo:[0,1] neg_hi:[0,1]
	v_pk_add_f32 v[2:3], v[2:3], v[26:27]
	v_pk_add_f32 v[56:57], v[22:23], v[14:15]
	;; [unrolled: 1-line block ×5, first 2 shown]
	s_mov_b32 s12, 0xbf3f9e67
	v_pk_add_f32 v[2:3], v[2:3], v[34:35]
	v_pk_add_f32 v[72:73], v[30:31], v[32:33] neg_lo:[0,1] neg_hi:[0,1]
	v_pk_add_f32 v[2:3], v[2:3], v[38:39]
	s_mov_b32 s20, 0xbe750f2a
	v_pk_add_f32 v[2:3], v[2:3], v[14:15]
	v_pk_add_f32 v[70:71], v[30:31], v[32:33]
	;; [unrolled: 1-line block ×3, first 2 shown]
	v_pk_mul_f32 v[12:13], v[54:55], s[16:17] op_sel_hi:[1,0]
	v_pk_add_f32 v[36:37], v[2:3], v[16:17]
	v_pk_fma_f32 v[2:3], v[48:49], s[0:1], v[8:9] op_sel:[0,0,1] op_sel_hi:[1,0,0]
	v_pk_fma_f32 v[8:9], v[48:49], s[0:1], v[8:9] op_sel:[0,0,1] op_sel_hi:[1,0,0] neg_lo:[0,0,1] neg_hi:[0,0,1]
	v_mov_b32_e32 v10, v2
	v_mov_b32_e32 v11, v9
	v_pk_add_f32 v[16:17], v[0:1], v[10:11]
	v_pk_fma_f32 v[10:11], v[52:53], s[2:3], v[12:13] op_sel:[0,0,1] op_sel_hi:[1,0,0]
	v_pk_fma_f32 v[12:13], v[52:53], s[2:3], v[12:13] op_sel:[0,0,1] op_sel_hi:[1,0,0] neg_lo:[0,0,1] neg_hi:[0,0,1]
	v_mov_b32_e32 v18, v10
	v_mov_b32_e32 v19, v13
	v_pk_add_f32 v[18:19], v[18:19], v[16:17]
	v_pk_mul_f32 v[16:17], v[58:59], s[24:25] op_sel_hi:[1,0]
	s_mov_b32 s18, 0xbf788fa5
	v_pk_fma_f32 v[14:15], v[56:57], s[6:7], v[16:17] op_sel:[0,0,1] op_sel_hi:[1,0,0]
	v_pk_fma_f32 v[16:17], v[56:57], s[6:7], v[16:17] op_sel:[0,0,1] op_sel_hi:[1,0,0] neg_lo:[0,0,1] neg_hi:[0,0,1]
	v_mov_b32_e32 v20, v14
	v_mov_b32_e32 v21, v17
	v_pk_add_f32 v[22:23], v[20:21], v[18:19]
	v_pk_mul_f32 v[20:21], v[62:63], s[10:11] op_sel_hi:[1,0]
	v_pk_mul_f32 v[32:33], v[50:51], s[16:17] op_sel_hi:[1,0]
	v_pk_fma_f32 v[18:19], v[60:61], s[8:9], v[20:21] op_sel:[0,0,1] op_sel_hi:[1,0,0]
	v_pk_fma_f32 v[20:21], v[60:61], s[8:9], v[20:21] op_sel:[0,0,1] op_sel_hi:[1,0,0] neg_lo:[0,0,1] neg_hi:[0,0,1]
	v_mov_b32_e32 v24, v18
	v_mov_b32_e32 v25, v21
	v_pk_add_f32 v[28:29], v[24:25], v[22:23]
	v_pk_mul_f32 v[24:25], v[68:69], s[14:15] op_sel_hi:[1,0]
	s_mov_b32 s28, 0x3f29c268
	v_pk_fma_f32 v[22:23], v[66:67], s[12:13], v[24:25] op_sel:[0,0,1] op_sel_hi:[1,0,0]
	v_pk_fma_f32 v[24:25], v[66:67], s[12:13], v[24:25] op_sel:[0,0,1] op_sel_hi:[1,0,0] neg_lo:[0,0,1] neg_hi:[0,0,1]
	v_mov_b32_e32 v26, v22
	v_mov_b32_e32 v27, v25
	v_pk_add_f32 v[34:35], v[26:27], v[28:29]
	v_pk_mul_f32 v[28:29], v[72:73], s[20:21] op_sel_hi:[1,0]
	s_mov_b32 s22, 0x3f7e222b
	v_pk_fma_f32 v[26:27], v[70:71], s[18:19], v[28:29] op_sel:[0,0,1] op_sel_hi:[1,0,0]
	v_pk_fma_f32 v[28:29], v[70:71], s[18:19], v[28:29] op_sel:[0,0,1] op_sel_hi:[1,0,0] neg_lo:[0,0,1] neg_hi:[0,0,1]
	v_mov_b32_e32 v30, v26
	v_mov_b32_e32 v31, v29
	v_pk_add_f32 v[30:31], v[30:31], v[34:35]
	ds_write2_b64 v88, v[36:37], v[30:31] offset1:117
	v_pk_fma_f32 v[30:31], v[48:49], s[2:3], v[32:33] op_sel:[0,0,1] op_sel_hi:[1,0,0]
	v_pk_fma_f32 v[32:33], v[48:49], s[2:3], v[32:33] op_sel:[0,0,1] op_sel_hi:[1,0,0] neg_lo:[0,0,1] neg_hi:[0,0,1]
	v_mov_b32_e32 v34, v30
	v_mov_b32_e32 v35, v33
	v_pk_mul_f32 v[36:37], v[54:55], s[10:11] op_sel_hi:[1,0]
	v_pk_add_f32 v[38:39], v[0:1], v[34:35]
	v_pk_fma_f32 v[34:35], v[52:53], s[8:9], v[36:37] op_sel:[0,0,1] op_sel_hi:[1,0,0]
	v_pk_fma_f32 v[36:37], v[52:53], s[8:9], v[36:37] op_sel:[0,0,1] op_sel_hi:[1,0,0] neg_lo:[0,0,1] neg_hi:[0,0,1]
	v_mov_b32_e32 v40, v34
	v_mov_b32_e32 v41, v37
	v_pk_add_f32 v[42:43], v[40:41], v[38:39]
	v_pk_mul_f32 v[40:41], v[58:59], s[20:21] op_sel_hi:[1,0]
	s_mov_b32 s26, 0x3eedf032
	v_pk_fma_f32 v[38:39], v[56:57], s[18:19], v[40:41] op_sel:[0,0,1] op_sel_hi:[1,0,0]
	v_pk_fma_f32 v[40:41], v[56:57], s[18:19], v[40:41] op_sel:[0,0,1] op_sel_hi:[1,0,0] neg_lo:[0,0,1] neg_hi:[0,0,1]
	v_mov_b32_e32 v44, v38
	v_mov_b32_e32 v45, v41
	v_pk_add_f32 v[74:75], v[44:45], v[42:43]
	v_pk_mul_f32 v[44:45], v[62:63], s[28:29] op_sel_hi:[1,0]
	v_pk_mul_f32 v[92:93], v[54:55], s[20:21] op_sel_hi:[1,0]
	v_pk_fma_f32 v[42:43], v[60:61], s[12:13], v[44:45] op_sel:[0,0,1] op_sel_hi:[1,0,0]
	v_pk_fma_f32 v[44:45], v[60:61], s[12:13], v[44:45] op_sel:[0,0,1] op_sel_hi:[1,0,0] neg_lo:[0,0,1] neg_hi:[0,0,1]
	v_mov_b32_e32 v76, v42
	v_mov_b32_e32 v77, v45
	v_pk_add_f32 v[74:75], v[76:77], v[74:75]
	v_pk_mul_f32 v[76:77], v[68:69], s[22:23] op_sel_hi:[1,0]
	v_pk_fma_f32 v[94:95], v[52:53], s[18:19], v[92:93] op_sel:[0,0,1] op_sel_hi:[1,0,0]
	v_pk_fma_f32 v[78:79], v[66:67], s[6:7], v[76:77] op_sel:[0,0,1] op_sel_hi:[1,0,0]
	v_pk_fma_f32 v[76:77], v[66:67], s[6:7], v[76:77] op_sel:[0,0,1] op_sel_hi:[1,0,0] neg_lo:[0,0,1] neg_hi:[0,0,1]
	v_mov_b32_e32 v80, v78
	v_mov_b32_e32 v81, v77
	v_pk_add_f32 v[74:75], v[80:81], v[74:75]
	v_pk_mul_f32 v[80:81], v[72:73], s[26:27] op_sel_hi:[1,0]
	v_pk_fma_f32 v[92:93], v[52:53], s[18:19], v[92:93] op_sel:[0,0,1] op_sel_hi:[1,0,0] neg_lo:[0,0,1] neg_hi:[0,0,1]
	v_pk_fma_f32 v[82:83], v[70:71], s[0:1], v[80:81] op_sel:[0,0,1] op_sel_hi:[1,0,0]
	v_pk_fma_f32 v[80:81], v[70:71], s[0:1], v[80:81] op_sel:[0,0,1] op_sel_hi:[1,0,0] neg_lo:[0,0,1] neg_hi:[0,0,1]
	v_mov_b32_e32 v84, v82
	v_mov_b32_e32 v85, v81
	v_pk_add_f32 v[74:75], v[84:85], v[74:75]
	v_pk_mul_f32 v[84:85], v[50:51], s[24:25] op_sel_hi:[1,0]
	v_mov_b32_e32 v98, v94
	v_pk_fma_f32 v[86:87], v[48:49], s[6:7], v[84:85] op_sel:[0,0,1] op_sel_hi:[1,0,0]
	v_pk_fma_f32 v[84:85], v[48:49], s[6:7], v[84:85] op_sel:[0,0,1] op_sel_hi:[1,0,0] neg_lo:[0,0,1] neg_hi:[0,0,1]
	v_mov_b32_e32 v90, v86
	v_mov_b32_e32 v91, v85
	v_pk_add_f32 v[90:91], v[0:1], v[90:91]
	v_mov_b32_e32 v99, v93
	s_mov_b32 s30, 0x3f6f5d39
	v_pk_add_f32 v[90:91], v[98:99], v[90:91]
	v_pk_mul_f32 v[98:99], v[58:59], s[30:31] op_sel_hi:[1,0]
	v_pk_mul_f32 v[130:131], v[54:55], s[28:29] op_sel_hi:[1,0]
	v_pk_fma_f32 v[100:101], v[56:57], s[8:9], v[98:99] op_sel:[0,0,1] op_sel_hi:[1,0,0]
	v_pk_fma_f32 v[98:99], v[56:57], s[8:9], v[98:99] op_sel:[0,0,1] op_sel_hi:[1,0,0] neg_lo:[0,0,1] neg_hi:[0,0,1]
	v_mov_b32_e32 v104, v100
	v_mov_b32_e32 v105, v99
	v_pk_add_f32 v[90:91], v[104:105], v[90:91]
	v_pk_mul_f32 v[104:105], v[62:63], s[26:27] op_sel_hi:[1,0]
	v_pk_fma_f32 v[132:133], v[52:53], s[12:13], v[130:131] op_sel:[0,0,1] op_sel_hi:[1,0,0]
	v_pk_fma_f32 v[106:107], v[60:61], s[0:1], v[104:105] op_sel:[0,0,1] op_sel_hi:[1,0,0]
	v_pk_fma_f32 v[104:105], v[60:61], s[0:1], v[104:105] op_sel:[0,0,1] op_sel_hi:[1,0,0] neg_lo:[0,0,1] neg_hi:[0,0,1]
	v_mov_b32_e32 v120, v106
	v_mov_b32_e32 v121, v105
	v_pk_add_f32 v[90:91], v[120:121], v[90:91]
	v_pk_mul_f32 v[120:121], v[68:69], s[16:17] op_sel_hi:[1,0]
	v_pk_fma_f32 v[130:131], v[52:53], s[12:13], v[130:131] op_sel:[0,0,1] op_sel_hi:[1,0,0] neg_lo:[0,0,1] neg_hi:[0,0,1]
	v_pk_fma_f32 v[122:123], v[66:67], s[2:3], v[120:121] op_sel:[0,0,1] op_sel_hi:[1,0,0]
	v_pk_fma_f32 v[120:121], v[66:67], s[2:3], v[120:121] op_sel:[0,0,1] op_sel_hi:[1,0,0] neg_lo:[0,0,1] neg_hi:[0,0,1]
	v_mov_b32_e32 v124, v122
	v_mov_b32_e32 v125, v121
	v_pk_add_f32 v[90:91], v[124:125], v[90:91]
	v_pk_mul_f32 v[124:125], v[72:73], s[14:15] op_sel_hi:[1,0]
	v_mov_b32_e32 v134, v132
	v_pk_fma_f32 v[126:127], v[70:71], s[12:13], v[124:125] op_sel:[0,0,1] op_sel_hi:[1,0,0]
	v_pk_fma_f32 v[124:125], v[70:71], s[12:13], v[124:125] op_sel:[0,0,1] op_sel_hi:[1,0,0] neg_lo:[0,0,1] neg_hi:[0,0,1]
	v_mov_b32_e32 v128, v126
	v_mov_b32_e32 v129, v125
	v_pk_add_f32 v[90:91], v[128:129], v[90:91]
	ds_write2_b64 v89, v[74:75], v[90:91] offset0:106 offset1:223
	v_pk_mul_f32 v[74:75], v[50:51], s[10:11] op_sel_hi:[1,0]
	v_mov_b32_e32 v135, v131
	v_pk_fma_f32 v[90:91], v[48:49], s[8:9], v[74:75] op_sel:[0,0,1] op_sel_hi:[1,0,0]
	v_pk_fma_f32 v[74:75], v[48:49], s[8:9], v[74:75] op_sel:[0,0,1] op_sel_hi:[1,0,0] neg_lo:[0,0,1] neg_hi:[0,0,1]
	v_mov_b32_e32 v128, v90
	v_mov_b32_e32 v129, v75
	v_pk_add_f32 v[128:129], v[0:1], v[128:129]
	s_mov_b32 s28, 0x3f52af12
	v_pk_add_f32 v[128:129], v[134:135], v[128:129]
	v_pk_mul_f32 v[134:135], v[58:59], s[26:27] op_sel_hi:[1,0]
	v_pk_mul_f32 v[156:157], v[54:55], s[22:23] op_sel_hi:[1,0]
	v_pk_fma_f32 v[136:137], v[56:57], s[0:1], v[134:135] op_sel:[0,0,1] op_sel_hi:[1,0,0]
	v_pk_fma_f32 v[134:135], v[56:57], s[0:1], v[134:135] op_sel:[0,0,1] op_sel_hi:[1,0,0] neg_lo:[0,0,1] neg_hi:[0,0,1]
	v_mov_b32_e32 v138, v136
	v_mov_b32_e32 v139, v135
	v_pk_add_f32 v[128:129], v[138:139], v[128:129]
	v_pk_mul_f32 v[138:139], v[62:63], s[24:25] op_sel_hi:[1,0]
	s_mov_b32 s24, 0x3e750f2a
	v_pk_fma_f32 v[140:141], v[60:61], s[6:7], v[138:139] op_sel:[0,0,1] op_sel_hi:[1,0,0]
	v_pk_fma_f32 v[138:139], v[60:61], s[6:7], v[138:139] op_sel:[0,0,1] op_sel_hi:[1,0,0] neg_lo:[0,0,1] neg_hi:[0,0,1]
	v_mov_b32_e32 v142, v140
	v_mov_b32_e32 v143, v139
	v_pk_add_f32 v[128:129], v[142:143], v[128:129]
	v_pk_mul_f32 v[142:143], v[68:69], s[24:25] op_sel_hi:[1,0]
	v_pk_fma_f32 v[158:159], v[52:53], s[6:7], v[156:157] op_sel:[0,0,1] op_sel_hi:[1,0,0]
	v_pk_fma_f32 v[144:145], v[66:67], s[18:19], v[142:143] op_sel:[0,0,1] op_sel_hi:[1,0,0]
	v_pk_fma_f32 v[142:143], v[66:67], s[18:19], v[142:143] op_sel:[0,0,1] op_sel_hi:[1,0,0] neg_lo:[0,0,1] neg_hi:[0,0,1]
	v_mov_b32_e32 v146, v144
	v_mov_b32_e32 v147, v143
	v_pk_add_f32 v[128:129], v[146:147], v[128:129]
	v_pk_mul_f32 v[146:147], v[72:73], s[28:29] op_sel_hi:[1,0]
	v_pk_fma_f32 v[156:157], v[52:53], s[6:7], v[156:157] op_sel:[0,0,1] op_sel_hi:[1,0,0] neg_lo:[0,0,1] neg_hi:[0,0,1]
	v_pk_fma_f32 v[148:149], v[70:71], s[2:3], v[146:147] op_sel:[0,0,1] op_sel_hi:[1,0,0]
	v_pk_fma_f32 v[146:147], v[70:71], s[2:3], v[146:147] op_sel:[0,0,1] op_sel_hi:[1,0,0] neg_lo:[0,0,1] neg_hi:[0,0,1]
	v_mov_b32_e32 v150, v148
	v_mov_b32_e32 v151, v147
	v_pk_add_f32 v[128:129], v[150:151], v[128:129]
	v_pk_mul_f32 v[150:151], v[50:51], s[14:15] op_sel_hi:[1,0]
	v_mov_b32_e32 v160, v158
	v_pk_fma_f32 v[152:153], v[48:49], s[12:13], v[150:151] op_sel:[0,0,1] op_sel_hi:[1,0,0]
	v_pk_fma_f32 v[150:151], v[48:49], s[12:13], v[150:151] op_sel:[0,0,1] op_sel_hi:[1,0,0] neg_lo:[0,0,1] neg_hi:[0,0,1]
	v_mov_b32_e32 v154, v152
	v_mov_b32_e32 v155, v151
	v_pk_add_f32 v[154:155], v[0:1], v[154:155]
	v_mov_b32_e32 v161, v157
	v_pk_add_f32 v[154:155], v[160:161], v[154:155]
	v_pk_mul_f32 v[160:161], v[58:59], s[16:17] op_sel_hi:[1,0]
	v_pk_mul_f32 v[50:51], v[50:51], s[20:21] op_sel_hi:[1,0]
	v_pk_fma_f32 v[162:163], v[56:57], s[2:3], v[160:161] op_sel:[0,0,1] op_sel_hi:[1,0,0]
	v_pk_fma_f32 v[160:161], v[56:57], s[2:3], v[160:161] op_sel:[0,0,1] op_sel_hi:[1,0,0] neg_lo:[0,0,1] neg_hi:[0,0,1]
	v_mov_b32_e32 v164, v162
	v_mov_b32_e32 v165, v161
	v_pk_add_f32 v[154:155], v[164:165], v[154:155]
	v_pk_mul_f32 v[164:165], v[62:63], s[24:25] op_sel_hi:[1,0]
	v_pk_mul_f32 v[54:55], v[54:55], s[26:27] op_sel_hi:[1,0]
	v_pk_fma_f32 v[166:167], v[60:61], s[18:19], v[164:165] op_sel:[0,0,1] op_sel_hi:[1,0,0]
	v_pk_fma_f32 v[164:165], v[60:61], s[18:19], v[164:165] op_sel:[0,0,1] op_sel_hi:[1,0,0] neg_lo:[0,0,1] neg_hi:[0,0,1]
	v_mov_b32_e32 v168, v166
	v_mov_b32_e32 v169, v165
	v_pk_add_f32 v[154:155], v[168:169], v[154:155]
	v_pk_mul_f32 v[168:169], v[68:69], s[26:27] op_sel_hi:[1,0]
	v_mov_b32_e32 v151, v153
	v_pk_fma_f32 v[170:171], v[66:67], s[0:1], v[168:169] op_sel:[0,0,1] op_sel_hi:[1,0,0]
	v_pk_fma_f32 v[168:169], v[66:67], s[0:1], v[168:169] op_sel:[0,0,1] op_sel_hi:[1,0,0] neg_lo:[0,0,1] neg_hi:[0,0,1]
	v_mov_b32_e32 v172, v170
	v_mov_b32_e32 v173, v169
	v_pk_add_f32 v[154:155], v[172:173], v[154:155]
	v_pk_mul_f32 v[172:173], v[72:73], s[10:11] op_sel_hi:[1,0]
	v_mov_b32_e32 v75, v91
	v_pk_fma_f32 v[174:175], v[70:71], s[8:9], v[172:173] op_sel:[0,0,1] op_sel_hi:[1,0,0]
	v_pk_fma_f32 v[172:173], v[70:71], s[8:9], v[172:173] op_sel:[0,0,1] op_sel_hi:[1,0,0] neg_lo:[0,0,1] neg_hi:[0,0,1]
	v_mov_b32_e32 v176, v174
	v_mov_b32_e32 v177, v173
	v_pk_add_f32 v[154:155], v[176:177], v[154:155]
	ds_write2_b64 v65, v[128:129], v[154:155] offset0:84 offset1:201
	v_pk_fma_f32 v[128:129], v[48:49], s[18:19], v[50:51] op_sel:[0,0,1] op_sel_hi:[1,0,0]
	v_pk_fma_f32 v[48:49], v[48:49], s[18:19], v[50:51] op_sel:[0,0,1] op_sel_hi:[1,0,0] neg_lo:[0,0,1] neg_hi:[0,0,1]
	v_mov_b32_e32 v50, v128
	v_mov_b32_e32 v51, v49
	v_pk_fma_f32 v[154:155], v[52:53], s[0:1], v[54:55] op_sel:[0,0,1] op_sel_hi:[1,0,0]
	v_pk_fma_f32 v[52:53], v[52:53], s[0:1], v[54:55] op_sel:[0,0,1] op_sel_hi:[1,0,0] neg_lo:[0,0,1] neg_hi:[0,0,1]
	v_pk_add_f32 v[50:51], v[0:1], v[50:51]
	v_mov_b32_e32 v54, v154
	v_mov_b32_e32 v55, v53
	v_pk_add_f32 v[50:51], v[54:55], v[50:51]
	v_pk_mul_f32 v[54:55], v[58:59], s[14:15] op_sel_hi:[1,0]
	v_mov_b32_e32 v49, v129
	v_pk_fma_f32 v[58:59], v[56:57], s[12:13], v[54:55] op_sel:[0,0,1] op_sel_hi:[1,0,0]
	v_pk_fma_f32 v[54:55], v[56:57], s[12:13], v[54:55] op_sel:[0,0,1] op_sel_hi:[1,0,0] neg_lo:[0,0,1] neg_hi:[0,0,1]
	v_mov_b32_e32 v56, v58
	v_mov_b32_e32 v57, v55
	v_pk_add_f32 v[50:51], v[56:57], v[50:51]
	v_pk_mul_f32 v[56:57], v[62:63], s[28:29] op_sel_hi:[1,0]
	v_pk_add_f32 v[48:49], v[0:1], v[48:49]
	v_pk_fma_f32 v[62:63], v[60:61], s[2:3], v[56:57] op_sel:[0,0,1] op_sel_hi:[1,0,0]
	v_pk_fma_f32 v[56:57], v[60:61], s[2:3], v[56:57] op_sel:[0,0,1] op_sel_hi:[1,0,0] neg_lo:[0,0,1] neg_hi:[0,0,1]
	v_mov_b32_e32 v60, v62
	v_mov_b32_e32 v61, v57
	v_pk_add_f32 v[50:51], v[60:61], v[50:51]
	v_pk_mul_f32 v[60:61], v[68:69], s[10:11] op_sel_hi:[1,0]
	v_mov_b32_e32 v53, v155
	v_pk_fma_f32 v[68:69], v[66:67], s[8:9], v[60:61] op_sel:[0,0,1] op_sel_hi:[1,0,0]
	v_pk_fma_f32 v[60:61], v[66:67], s[8:9], v[60:61] op_sel:[0,0,1] op_sel_hi:[1,0,0] neg_lo:[0,0,1] neg_hi:[0,0,1]
	v_mov_b32_e32 v66, v68
	v_mov_b32_e32 v67, v61
	v_pk_add_f32 v[48:49], v[52:53], v[48:49]
	v_mov_b32_e32 v55, v59
	v_pk_add_f32 v[50:51], v[66:67], v[50:51]
	v_pk_mul_f32 v[66:67], v[72:73], s[22:23] op_sel_hi:[1,0]
	v_pk_add_f32 v[48:49], v[54:55], v[48:49]
	v_mov_b32_e32 v57, v63
	v_pk_fma_f32 v[72:73], v[70:71], s[6:7], v[66:67] op_sel:[0,0,1] op_sel_hi:[1,0,0]
	v_pk_fma_f32 v[66:67], v[70:71], s[6:7], v[66:67] op_sel:[0,0,1] op_sel_hi:[1,0,0] neg_lo:[0,0,1] neg_hi:[0,0,1]
	v_pk_add_f32 v[48:49], v[56:57], v[48:49]
	v_mov_b32_e32 v61, v69
	v_mov_b32_e32 v70, v72
	;; [unrolled: 1-line block ×3, first 2 shown]
	v_pk_add_f32 v[48:49], v[60:61], v[48:49]
	v_mov_b32_e32 v67, v73
	v_pk_add_f32 v[50:51], v[70:71], v[50:51]
	v_pk_add_f32 v[48:49], v[66:67], v[48:49]
	ds_write2_b64 v64, v[50:51], v[48:49] offset0:62 offset1:179
	v_pk_add_f32 v[48:49], v[0:1], v[150:151]
	v_mov_b32_e32 v157, v159
	v_pk_add_f32 v[50:51], v[0:1], v[74:75]
	v_mov_b32_e32 v131, v133
	;; [unrolled: 2-line block ×10, first 2 shown]
	v_pk_add_f32 v[48:49], v[172:173], v[48:49]
	v_pk_add_f32 v[50:51], v[146:147], v[50:51]
	v_mov_b32_e32 v85, v87
	v_mov_b32_e32 v33, v31
	;; [unrolled: 1-line block ×3, first 2 shown]
	ds_write2_b64 v47, v[48:49], v[50:51] offset0:40 offset1:157
	v_pk_add_f32 v[48:49], v[0:1], v[84:85]
	v_mov_b32_e32 v93, v95
	v_pk_add_f32 v[30:31], v[0:1], v[32:33]
	v_mov_b32_e32 v37, v35
	;; [unrolled: 2-line block ×15, first 2 shown]
	v_pk_add_f32 v[48:49], v[124:125], v[48:49]
	v_pk_add_f32 v[30:31], v[80:81], v[30:31]
	;; [unrolled: 1-line block ×3, first 2 shown]
	ds_write2_b64 v46, v[48:49], v[30:31] offset0:18 offset1:135
	ds_write_b64 v88, v[0:1] offset:11232
	s_waitcnt lgkmcnt(0)
	s_barrier
	ds_read2_b64 v[0:3], v88 offset1:117
	v_mov_b32_e32 v8, v7
	v_mad_u64_u32 v[8:9], s[0:1], s7, v102, v[8:9]
	v_mov_b32_e32 v7, v8
	s_waitcnt lgkmcnt(0)
	v_mul_f32_e32 v8, v119, v1
	v_fmac_f32_e32 v8, v118, v0
	v_mul_f32_e32 v0, v119, v0
	s_mov_b32 s0, 0x509ee28c
	v_fma_f32 v0, v118, v1, -v0
	v_cvt_f64_f32_e32 v[8:9], v8
	s_mov_b32 s1, 0x3f458b31
	v_cvt_f64_f32_e32 v[0:1], v0
	v_mul_f64 v[8:9], v[8:9], s[0:1]
	v_mul_f64 v[0:1], v[0:1], s[0:1]
	v_cvt_f32_f64_e32 v8, v[8:9]
	v_cvt_f32_f64_e32 v9, v[0:1]
	v_mad_u64_u32 v[0:1], s[2:3], s4, v96, 0
	v_mov_b32_e32 v10, v1
	v_mov_b32_e32 v5, s13
	v_mad_u64_u32 v[10:11], s[2:3], s5, v96, v[10:11]
	v_mov_b32_e32 v1, v10
	v_lshl_add_u64 v[4:5], v[6:7], 3, v[4:5]
	v_lshl_add_u64 v[4:5], v[0:1], 3, v[4:5]
	v_mul_f32_e32 v0, v117, v3
	v_fmac_f32_e32 v0, v116, v2
	v_cvt_f64_f32_e32 v[0:1], v0
	v_mul_f64 v[0:1], v[0:1], s[0:1]
	v_cvt_f32_f64_e32 v6, v[0:1]
	v_mul_f32_e32 v0, v117, v2
	v_fma_f32 v0, v116, v3, -v0
	v_cvt_f64_f32_e32 v[0:1], v0
	v_mul_f64 v[0:1], v[0:1], s[0:1]
	v_cvt_f32_f64_e32 v7, v[0:1]
	ds_read2_b64 v[0:3], v89 offset0:106 offset1:223
	global_store_dwordx2 v[4:5], v[8:9], off
	v_mov_b32_e32 v8, 0x3a8
	v_mad_u64_u32 v[4:5], s[2:3], s4, v8, v[4:5]
	s_mul_i32 s2, s5, 0x3a8
	s_nop 0
	v_add_u32_e32 v5, s2, v5
	global_store_dwordx2 v[4:5], v[6:7], off
	s_waitcnt lgkmcnt(0)
	v_mul_f32_e32 v6, v115, v1
	v_fmac_f32_e32 v6, v114, v0
	v_mul_f32_e32 v0, v115, v0
	v_fma_f32 v0, v114, v1, -v0
	v_cvt_f64_f32_e32 v[6:7], v6
	v_cvt_f64_f32_e32 v[0:1], v0
	v_accvgpr_read_b32 v10, a12
	v_mul_f64 v[6:7], v[6:7], s[0:1]
	v_mul_f64 v[0:1], v[0:1], s[0:1]
	v_accvgpr_read_b32 v11, a13
	v_cvt_f32_f64_e32 v6, v[6:7]
	v_cvt_f32_f64_e32 v7, v[0:1]
	v_mul_f32_e32 v0, v11, v3
	v_fmac_f32_e32 v0, v10, v2
	v_mad_u64_u32 v[4:5], s[6:7], s4, v8, v[4:5]
	v_cvt_f64_f32_e32 v[0:1], v0
	v_add_u32_e32 v5, s2, v5
	v_mul_f64 v[0:1], v[0:1], s[0:1]
	global_store_dwordx2 v[4:5], v[6:7], off
	v_cvt_f32_f64_e32 v6, v[0:1]
	v_mul_f32_e32 v0, v11, v2
	v_fma_f32 v0, v10, v3, -v0
	v_cvt_f64_f32_e32 v[0:1], v0
	v_mul_f64 v[0:1], v[0:1], s[0:1]
	v_cvt_f32_f64_e32 v7, v[0:1]
	ds_read2_b64 v[0:3], v65 offset0:84 offset1:201
	v_mad_u64_u32 v[4:5], s[6:7], s4, v8, v[4:5]
	v_accvgpr_read_b32 v10, a10
	v_add_u32_e32 v5, s2, v5
	v_accvgpr_read_b32 v11, a11
	global_store_dwordx2 v[4:5], v[6:7], off
	s_waitcnt lgkmcnt(0)
	v_mul_f32_e32 v6, v11, v1
	v_fmac_f32_e32 v6, v10, v0
	v_mul_f32_e32 v0, v11, v0
	v_fma_f32 v0, v10, v1, -v0
	v_cvt_f64_f32_e32 v[6:7], v6
	v_cvt_f64_f32_e32 v[0:1], v0
	v_mul_f64 v[6:7], v[6:7], s[0:1]
	v_mul_f64 v[0:1], v[0:1], s[0:1]
	v_cvt_f32_f64_e32 v6, v[6:7]
	v_cvt_f32_f64_e32 v7, v[0:1]
	v_mul_f32_e32 v0, v111, v3
	v_fmac_f32_e32 v0, v110, v2
	v_mad_u64_u32 v[4:5], s[6:7], s4, v8, v[4:5]
	v_cvt_f64_f32_e32 v[0:1], v0
	v_add_u32_e32 v5, s2, v5
	v_mul_f64 v[0:1], v[0:1], s[0:1]
	global_store_dwordx2 v[4:5], v[6:7], off
	v_cvt_f32_f64_e32 v6, v[0:1]
	v_mul_f32_e32 v0, v111, v2
	v_fma_f32 v0, v110, v3, -v0
	v_cvt_f64_f32_e32 v[0:1], v0
	v_mul_f64 v[0:1], v[0:1], s[0:1]
	v_cvt_f32_f64_e32 v7, v[0:1]
	ds_read2_b64 v[0:3], v64 offset0:62 offset1:179
	v_mad_u64_u32 v[4:5], s[6:7], s4, v8, v[4:5]
	v_add_u32_e32 v5, s2, v5
	global_store_dwordx2 v[4:5], v[6:7], off
	s_waitcnt lgkmcnt(0)
	v_mul_f32_e32 v6, v113, v1
	v_fmac_f32_e32 v6, v112, v0
	v_mul_f32_e32 v0, v113, v0
	v_fma_f32 v0, v112, v1, -v0
	v_cvt_f64_f32_e32 v[6:7], v6
	v_cvt_f64_f32_e32 v[0:1], v0
	v_mul_f64 v[6:7], v[6:7], s[0:1]
	v_mul_f64 v[0:1], v[0:1], s[0:1]
	v_cvt_f32_f64_e32 v6, v[6:7]
	v_cvt_f32_f64_e32 v7, v[0:1]
	v_mul_f32_e32 v0, v109, v3
	v_fmac_f32_e32 v0, v108, v2
	v_mad_u64_u32 v[4:5], s[6:7], s4, v8, v[4:5]
	v_cvt_f64_f32_e32 v[0:1], v0
	v_add_u32_e32 v5, s2, v5
	v_mul_f64 v[0:1], v[0:1], s[0:1]
	global_store_dwordx2 v[4:5], v[6:7], off
	v_cvt_f32_f64_e32 v6, v[0:1]
	v_mul_f32_e32 v0, v109, v2
	v_fma_f32 v0, v108, v3, -v0
	v_cvt_f64_f32_e32 v[0:1], v0
	v_mul_f64 v[0:1], v[0:1], s[0:1]
	v_cvt_f32_f64_e32 v7, v[0:1]
	ds_read2_b64 v[0:3], v47 offset0:40 offset1:157
	v_mad_u64_u32 v[4:5], s[6:7], s4, v8, v[4:5]
	v_add_u32_e32 v5, s2, v5
	v_accvgpr_read_b32 v11, a7
	global_store_dwordx2 v[4:5], v[6:7], off
	v_accvgpr_read_b32 v10, a6
	s_waitcnt lgkmcnt(0)
	v_mul_f32_e32 v6, v11, v1
	v_fmac_f32_e32 v6, v10, v0
	v_mul_f32_e32 v0, v11, v0
	v_fma_f32 v0, v10, v1, -v0
	v_cvt_f64_f32_e32 v[6:7], v6
	v_cvt_f64_f32_e32 v[0:1], v0
	v_mul_f64 v[6:7], v[6:7], s[0:1]
	v_mul_f64 v[0:1], v[0:1], s[0:1]
	v_accvgpr_read_b32 v11, a9
	v_cvt_f32_f64_e32 v6, v[6:7]
	v_cvt_f32_f64_e32 v7, v[0:1]
	v_accvgpr_read_b32 v10, a8
	v_mul_f32_e32 v0, v11, v3
	v_fmac_f32_e32 v0, v10, v2
	v_mad_u64_u32 v[4:5], s[6:7], s4, v8, v[4:5]
	v_cvt_f64_f32_e32 v[0:1], v0
	v_add_u32_e32 v5, s2, v5
	v_mul_f64 v[0:1], v[0:1], s[0:1]
	global_store_dwordx2 v[4:5], v[6:7], off
	v_cvt_f32_f64_e32 v6, v[0:1]
	v_mul_f32_e32 v0, v11, v2
	v_fma_f32 v0, v10, v3, -v0
	v_cvt_f64_f32_e32 v[0:1], v0
	v_mul_f64 v[0:1], v[0:1], s[0:1]
	v_cvt_f32_f64_e32 v7, v[0:1]
	ds_read2_b64 v[0:3], v46 offset0:18 offset1:135
	v_mad_u64_u32 v[4:5], s[6:7], s4, v8, v[4:5]
	v_add_u32_e32 v5, s2, v5
	v_accvgpr_read_b32 v11, a5
	global_store_dwordx2 v[4:5], v[6:7], off
	v_accvgpr_read_b32 v10, a4
	s_waitcnt lgkmcnt(0)
	v_mul_f32_e32 v6, v11, v1
	v_fmac_f32_e32 v6, v10, v0
	v_mul_f32_e32 v0, v11, v0
	v_fma_f32 v0, v10, v1, -v0
	v_cvt_f64_f32_e32 v[6:7], v6
	v_cvt_f64_f32_e32 v[0:1], v0
	v_mul_f64 v[6:7], v[6:7], s[0:1]
	v_mul_f64 v[0:1], v[0:1], s[0:1]
	v_cvt_f32_f64_e32 v6, v[6:7]
	v_cvt_f32_f64_e32 v7, v[0:1]
	v_mad_u64_u32 v[0:1], s[6:7], s4, v8, v[4:5]
	v_add_u32_e32 v1, s2, v1
	global_store_dwordx2 v[0:1], v[6:7], off
	v_accvgpr_read_b32 v7, a3
	v_accvgpr_read_b32 v6, a2
	v_mul_f32_e32 v4, v7, v3
	v_fmac_f32_e32 v4, v6, v2
	v_mul_f32_e32 v2, v7, v2
	v_fma_f32 v2, v6, v3, -v2
	v_cvt_f64_f32_e32 v[4:5], v4
	v_cvt_f64_f32_e32 v[2:3], v2
	v_mul_f64 v[4:5], v[4:5], s[0:1]
	v_mul_f64 v[2:3], v[2:3], s[0:1]
	v_cvt_f32_f64_e32 v4, v[4:5]
	v_cvt_f32_f64_e32 v5, v[2:3]
	ds_read_b64 v[2:3], v88 offset:11232
	v_mad_u64_u32 v[0:1], s[6:7], s4, v8, v[0:1]
	v_add_u32_e32 v1, s2, v1
	v_accvgpr_read_b32 v7, a1
	global_store_dwordx2 v[0:1], v[4:5], off
	v_accvgpr_read_b32 v6, a0
	s_waitcnt lgkmcnt(0)
	v_mul_f32_e32 v4, v7, v3
	v_fmac_f32_e32 v4, v6, v2
	v_mul_f32_e32 v2, v7, v2
	v_fma_f32 v2, v6, v3, -v2
	v_cvt_f64_f32_e32 v[4:5], v4
	v_cvt_f64_f32_e32 v[2:3], v2
	v_mul_f64 v[4:5], v[4:5], s[0:1]
	v_mul_f64 v[2:3], v[2:3], s[0:1]
	v_mad_u64_u32 v[0:1], s[0:1], s4, v8, v[0:1]
	v_cvt_f32_f64_e32 v4, v[4:5]
	v_cvt_f32_f64_e32 v5, v[2:3]
	v_add_u32_e32 v1, s2, v1
	global_store_dwordx2 v[0:1], v[4:5], off
.LBB0_18:
	s_endpgm
	.section	.rodata,"a",@progbits
	.p2align	6, 0x0
	.amdhsa_kernel bluestein_single_back_len1521_dim1_sp_op_CI_CI
		.amdhsa_group_segment_fixed_size 12168
		.amdhsa_private_segment_fixed_size 0
		.amdhsa_kernarg_size 104
		.amdhsa_user_sgpr_count 2
		.amdhsa_user_sgpr_dispatch_ptr 0
		.amdhsa_user_sgpr_queue_ptr 0
		.amdhsa_user_sgpr_kernarg_segment_ptr 1
		.amdhsa_user_sgpr_dispatch_id 0
		.amdhsa_user_sgpr_kernarg_preload_length 0
		.amdhsa_user_sgpr_kernarg_preload_offset 0
		.amdhsa_user_sgpr_private_segment_size 0
		.amdhsa_uses_dynamic_stack 0
		.amdhsa_enable_private_segment 0
		.amdhsa_system_sgpr_workgroup_id_x 1
		.amdhsa_system_sgpr_workgroup_id_y 0
		.amdhsa_system_sgpr_workgroup_id_z 0
		.amdhsa_system_sgpr_workgroup_info 0
		.amdhsa_system_vgpr_workitem_id 0
		.amdhsa_next_free_vgpr 279
		.amdhsa_next_free_sgpr 52
		.amdhsa_accum_offset 256
		.amdhsa_reserve_vcc 1
		.amdhsa_float_round_mode_32 0
		.amdhsa_float_round_mode_16_64 0
		.amdhsa_float_denorm_mode_32 3
		.amdhsa_float_denorm_mode_16_64 3
		.amdhsa_dx10_clamp 1
		.amdhsa_ieee_mode 1
		.amdhsa_fp16_overflow 0
		.amdhsa_tg_split 0
		.amdhsa_exception_fp_ieee_invalid_op 0
		.amdhsa_exception_fp_denorm_src 0
		.amdhsa_exception_fp_ieee_div_zero 0
		.amdhsa_exception_fp_ieee_overflow 0
		.amdhsa_exception_fp_ieee_underflow 0
		.amdhsa_exception_fp_ieee_inexact 0
		.amdhsa_exception_int_div_zero 0
	.end_amdhsa_kernel
	.text
.Lfunc_end0:
	.size	bluestein_single_back_len1521_dim1_sp_op_CI_CI, .Lfunc_end0-bluestein_single_back_len1521_dim1_sp_op_CI_CI
                                        ; -- End function
	.section	.AMDGPU.csdata,"",@progbits
; Kernel info:
; codeLenInByte = 18952
; NumSgprs: 58
; NumVgprs: 256
; NumAgprs: 23
; TotalNumVgprs: 279
; ScratchSize: 0
; MemoryBound: 0
; FloatMode: 240
; IeeeMode: 1
; LDSByteSize: 12168 bytes/workgroup (compile time only)
; SGPRBlocks: 7
; VGPRBlocks: 34
; NumSGPRsForWavesPerEU: 58
; NumVGPRsForWavesPerEU: 279
; AccumOffset: 256
; Occupancy: 1
; WaveLimiterHint : 1
; COMPUTE_PGM_RSRC2:SCRATCH_EN: 0
; COMPUTE_PGM_RSRC2:USER_SGPR: 2
; COMPUTE_PGM_RSRC2:TRAP_HANDLER: 0
; COMPUTE_PGM_RSRC2:TGID_X_EN: 1
; COMPUTE_PGM_RSRC2:TGID_Y_EN: 0
; COMPUTE_PGM_RSRC2:TGID_Z_EN: 0
; COMPUTE_PGM_RSRC2:TIDIG_COMP_CNT: 0
; COMPUTE_PGM_RSRC3_GFX90A:ACCUM_OFFSET: 63
; COMPUTE_PGM_RSRC3_GFX90A:TG_SPLIT: 0
	.text
	.p2alignl 6, 3212836864
	.fill 256, 4, 3212836864
	.type	__hip_cuid_8624406a807a5ea1,@object ; @__hip_cuid_8624406a807a5ea1
	.section	.bss,"aw",@nobits
	.globl	__hip_cuid_8624406a807a5ea1
__hip_cuid_8624406a807a5ea1:
	.byte	0                               ; 0x0
	.size	__hip_cuid_8624406a807a5ea1, 1

	.ident	"AMD clang version 19.0.0git (https://github.com/RadeonOpenCompute/llvm-project roc-6.4.0 25133 c7fe45cf4b819c5991fe208aaa96edf142730f1d)"
	.section	".note.GNU-stack","",@progbits
	.addrsig
	.addrsig_sym __hip_cuid_8624406a807a5ea1
	.amdgpu_metadata
---
amdhsa.kernels:
  - .agpr_count:     23
    .args:
      - .actual_access:  read_only
        .address_space:  global
        .offset:         0
        .size:           8
        .value_kind:     global_buffer
      - .actual_access:  read_only
        .address_space:  global
        .offset:         8
        .size:           8
        .value_kind:     global_buffer
      - .actual_access:  read_only
        .address_space:  global
        .offset:         16
        .size:           8
        .value_kind:     global_buffer
      - .actual_access:  read_only
        .address_space:  global
        .offset:         24
        .size:           8
        .value_kind:     global_buffer
      - .actual_access:  read_only
        .address_space:  global
        .offset:         32
        .size:           8
        .value_kind:     global_buffer
      - .offset:         40
        .size:           8
        .value_kind:     by_value
      - .address_space:  global
        .offset:         48
        .size:           8
        .value_kind:     global_buffer
      - .address_space:  global
        .offset:         56
        .size:           8
        .value_kind:     global_buffer
      - .address_space:  global
        .offset:         64
        .size:           8
        .value_kind:     global_buffer
      - .address_space:  global
        .offset:         72
        .size:           8
        .value_kind:     global_buffer
      - .offset:         80
        .size:           4
        .value_kind:     by_value
      - .address_space:  global
        .offset:         88
        .size:           8
        .value_kind:     global_buffer
      - .address_space:  global
        .offset:         96
        .size:           8
        .value_kind:     global_buffer
    .group_segment_fixed_size: 12168
    .kernarg_segment_align: 8
    .kernarg_segment_size: 104
    .language:       OpenCL C
    .language_version:
      - 2
      - 0
    .max_flat_workgroup_size: 117
    .name:           bluestein_single_back_len1521_dim1_sp_op_CI_CI
    .private_segment_fixed_size: 0
    .sgpr_count:     58
    .sgpr_spill_count: 0
    .symbol:         bluestein_single_back_len1521_dim1_sp_op_CI_CI.kd
    .uniform_work_group_size: 1
    .uses_dynamic_stack: false
    .vgpr_count:     279
    .vgpr_spill_count: 0
    .wavefront_size: 64
amdhsa.target:   amdgcn-amd-amdhsa--gfx950
amdhsa.version:
  - 1
  - 2
...

	.end_amdgpu_metadata
